;; amdgpu-corpus repo=ROCm/rocFFT kind=compiled arch=gfx950 opt=O3
	.text
	.amdgcn_target "amdgcn-amd-amdhsa--gfx950"
	.amdhsa_code_object_version 6
	.protected	bluestein_single_back_len2160_dim1_dp_op_CI_CI ; -- Begin function bluestein_single_back_len2160_dim1_dp_op_CI_CI
	.globl	bluestein_single_back_len2160_dim1_dp_op_CI_CI
	.p2align	8
	.type	bluestein_single_back_len2160_dim1_dp_op_CI_CI,@function
bluestein_single_back_len2160_dim1_dp_op_CI_CI: ; @bluestein_single_back_len2160_dim1_dp_op_CI_CI
; %bb.0:
	s_load_dwordx4 s[4:7], s[0:1], 0x28
	v_mul_u32_u24_e32 v1, 0x445, v0
	v_mov_b32_e32 v211, 0
	v_add_u32_sdwa v6, s2, v1 dst_sel:DWORD dst_unused:UNUSED_PAD src0_sel:DWORD src1_sel:WORD_1
	v_mov_b32_e32 v7, v211
	s_waitcnt lgkmcnt(0)
	v_cmp_gt_u64_e32 vcc, s[4:5], v[6:7]
	s_and_saveexec_b64 s[2:3], vcc
	s_cbranch_execz .LBB0_15
; %bb.1:
	s_load_dwordx4 s[12:15], s[0:1], 0x18
	s_load_dwordx2 s[16:17], s[0:1], 0x0
	v_mov_b32_e32 v4, 60
	v_mul_lo_u16_sdwa v1, v1, v4 dst_sel:DWORD dst_unused:UNUSED_PAD src0_sel:WORD_1 src1_sel:DWORD
	v_sub_u16_e32 v210, v0, v1
	s_waitcnt lgkmcnt(0)
	s_load_dwordx4 s[8:11], s[12:13], 0x0
	v_accvgpr_write_b32 a86, v6
	v_mov_b32_e32 v2, s6
	v_mov_b32_e32 v3, s7
	v_lshlrev_b32_e32 v166, 4, v210
	s_waitcnt lgkmcnt(0)
	v_mad_u64_u32 v[0:1], s[2:3], s10, v6, 0
	v_mov_b32_e32 v4, v1
	v_mad_u64_u32 v[4:5], s[2:3], s11, v6, v[4:5]
	v_mov_b32_e32 v1, v4
	v_mad_u64_u32 v[4:5], s[2:3], s8, v210, 0
	v_mov_b32_e32 v6, v5
	v_mad_u64_u32 v[6:7], s[2:3], s9, v210, v[6:7]
	s_mul_i32 s2, s9, 0xd8
	s_mul_hi_u32 s3, s8, 0xd8
	v_mov_b32_e32 v5, v6
	v_lshl_add_u64 v[56:57], v[0:1], 4, v[2:3]
	global_load_dwordx4 v[64:67], v166, s[16:17]
	s_add_i32 s3, s3, s2
	s_mul_i32 s2, s8, 0xd8
	v_lshl_add_u64 v[0:1], v[4:5], 4, v[56:57]
	s_lshl_b64 s[10:11], s[2:3], 4
	v_lshl_add_u64 v[2:3], v[0:1], 0, s[10:11]
	global_load_dwordx4 v[40:43], v[0:1], off
	global_load_dwordx4 v[8:11], v[2:3], off
	global_load_dwordx4 v[68:71], v166, s[16:17] offset:3456
	v_mov_b32_e32 v167, v211
	v_lshl_add_u64 v[164:165], s[16:17], 0, v[166:167]
	s_movk_i32 s2, 0x1000
	v_add_co_u32_e32 v48, vcc, s2, v164
	v_lshl_add_u64 v[0:1], v[2:3], 0, s[10:11]
	s_nop 0
	v_addc_co_u32_e32 v49, vcc, 0, v165, vcc
	s_movk_i32 s2, 0x2000
	global_load_dwordx4 v[24:27], v[0:1], off
	global_load_dwordx4 v[72:75], v[48:49], off offset:2816
	v_add_co_u32_e32 v50, vcc, s2, v164
	v_lshl_add_u64 v[0:1], v[0:1], 0, s[10:11]
	s_nop 0
	v_addc_co_u32_e32 v51, vcc, 0, v165, vcc
	global_load_dwordx4 v[76:79], v[50:51], off offset:2176
	s_movk_i32 s2, 0x3000
	global_load_dwordx4 v[16:19], v[0:1], off
	v_add_co_u32_e32 v52, vcc, s2, v164
	v_lshl_add_u64 v[0:1], v[0:1], 0, s[10:11]
	s_nop 0
	v_addc_co_u32_e32 v53, vcc, 0, v165, vcc
	s_movk_i32 s2, 0x4000
	global_load_dwordx4 v[28:31], v[0:1], off
	global_load_dwordx4 v[80:83], v[52:53], off offset:1536
	v_add_co_u32_e32 v44, vcc, s2, v164
	v_lshl_add_u64 v[0:1], v[0:1], 0, s[10:11]
	s_nop 0
	v_addc_co_u32_e32 v45, vcc, 0, v165, vcc
	global_load_dwordx4 v[32:35], v[0:1], off
	global_load_dwordx4 v[84:87], v[44:45], off offset:896
	v_lshl_add_u64 v[0:1], v[0:1], 0, s[10:11]
	s_movk_i32 s2, 0x5000
	v_or_b32_e32 v14, 0x6c0, v210
	global_load_dwordx4 v[36:39], v[0:1], off
	v_add_co_u32_e32 v46, vcc, s2, v164
	v_lshl_add_u64 v[12:13], v[0:1], 0, s[10:11]
	v_mad_u64_u32 v[0:1], s[2:3], s8, v14, 0
	v_mov_b32_e32 v2, v1
	v_addc_co_u32_e32 v47, vcc, 0, v165, vcc
	global_load_dwordx4 v[88:91], v[46:47], off offset:256
	v_mad_u64_u32 v[2:3], s[2:3], s9, v14, v[2:3]
	global_load_dwordx4 v[4:7], v[12:13], off
	global_load_dwordx4 v[92:95], v[46:47], off offset:3712
	v_mov_b32_e32 v1, v2
	v_mov_b32_e32 v60, 0x1b00
	v_lshl_add_u64 v[0:1], v[0:1], 4, v[56:57]
	scratch_store_dword off, v14, off offset:32 ; 4-byte Folded Spill
	v_lshlrev_b32_e32 v14, 4, v14
	v_mad_u64_u32 v[20:21], s[2:3], s8, v60, v[12:13]
	global_load_dwordx4 v[0:3], v[0:1], off
	s_movk_i32 s2, 0x7000
	global_load_dwordx4 v[96:99], v14, s[16:17]
	s_mul_i32 s20, s9, 0x1b00
	v_add_co_u32_e32 v54, vcc, s2, v164
	v_add_u32_e32 v21, s20, v21
	s_nop 0
	v_addc_co_u32_e32 v55, vcc, 0, v165, vcc
	scratch_store_dword off, v14, off offset:48 ; 4-byte Folded Spill
	global_load_dwordx4 v[12:15], v[20:21], off
	s_mul_hi_u32 s3, s8, 0xfffff8a4
	global_load_dwordx4 v[100:103], v[54:55], off offset:2432
	s_mul_i32 s2, s9, 0xfffff8a4
	s_sub_i32 s3, s3, s8
	s_add_i32 s13, s3, s2
	s_mul_i32 s12, s8, 0xfffff8a4
	s_lshl_b64 s[18:19], s[12:13], 4
	v_lshl_add_u64 v[58:59], v[20:21], 0, s[18:19]
	global_load_dwordx4 v[20:23], v[58:59], off
	global_load_dwordx4 v[104:107], v166, s[16:17] offset:960
	s_waitcnt vmcnt(22)
	v_mul_f64 v[62:63], v[42:43], v[66:67]
	v_fmac_f64_e32 v[62:63], v[40:41], v[64:65]
	v_mul_f64 v[40:41], v[40:41], v[66:67]
	s_load_dwordx2 s[2:3], s[0:1], 0x38
	s_load_dwordx4 s[4:7], s[14:15], 0x0
	scratch_store_dwordx4 off, v[64:67], off ; 16-byte Folded Spill
	v_lshl_add_u64 v[58:59], v[58:59], 0, s[10:11]
	global_load_dwordx4 v[108:111], v166, s[16:17] offset:1920
	v_fma_f64 v[64:65], v[42:43], v[64:65], -v[40:41]
	ds_write_b128 v166, v[62:65]
	global_load_dwordx4 v[40:43], v[58:59], off
	global_load_dwordx4 v[120:123], v[48:49], off offset:320
	s_waitcnt vmcnt(24)
	v_mul_f64 v[62:63], v[10:11], v[70:71]
	v_fmac_f64_e32 v[62:63], v[8:9], v[68:69]
	v_mul_f64 v[8:9], v[8:9], v[70:71]
	v_fma_f64 v[64:65], v[10:11], v[68:69], -v[8:9]
	s_waitcnt vmcnt(22)
	v_mul_f64 v[8:9], v[26:27], v[74:75]
	v_mul_f64 v[10:11], v[24:25], v[74:75]
	v_fmac_f64_e32 v[8:9], v[24:25], v[72:73]
	v_fma_f64 v[10:11], v[26:27], v[72:73], -v[10:11]
	ds_write_b128 v166, v[8:11] offset:6912
	scratch_store_dwordx4 off, v[68:71], off offset:56 ; 16-byte Folded Spill
	ds_write_b128 v166, v[62:65] offset:3456
	s_waitcnt vmcnt(21)
	v_mul_f64 v[8:9], v[18:19], v[78:79]
	v_mul_f64 v[10:11], v[16:17], v[78:79]
	v_fmac_f64_e32 v[8:9], v[16:17], v[76:77]
	v_fma_f64 v[10:11], v[18:19], v[76:77], -v[10:11]
	ds_write_b128 v166, v[8:11] offset:10368
	global_load_dwordx4 v[116:119], v[48:49], off offset:3776
	global_load_dwordx4 v[128:131], v[44:45], off offset:1856
	v_lshl_add_u64 v[24:25], v[58:59], 0, s[10:11]
	s_waitcnt vmcnt(21)
	v_mul_f64 v[8:9], v[30:31], v[82:83]
	v_mul_f64 v[10:11], v[28:29], v[82:83]
	v_fmac_f64_e32 v[8:9], v[28:29], v[80:81]
	v_fma_f64 v[10:11], v[30:31], v[80:81], -v[10:11]
	ds_write_b128 v166, v[8:11] offset:13824
	scratch_store_dwordx4 off, v[72:75], off offset:16 ; 16-byte Folded Spill
	scratch_store_dwordx4 off, v[76:79], off offset:120 ; 16-byte Folded Spill
	s_waitcnt vmcnt(21)
	v_mul_f64 v[8:9], v[34:35], v[86:87]
	v_mul_f64 v[10:11], v[32:33], v[86:87]
	v_fmac_f64_e32 v[8:9], v[32:33], v[84:85]
	v_fma_f64 v[10:11], v[34:35], v[84:85], -v[10:11]
	scratch_store_dwordx4 off, v[80:83], off offset:104 ; 16-byte Folded Spill
	scratch_store_dwordx4 off, v[84:87], off offset:88 ; 16-byte Folded Spill
	ds_write_b128 v166, v[8:11] offset:17280
	global_load_dwordx4 v[112:115], v[50:51], off offset:640
	global_load_dwordx4 v[132:135], v[52:53], off offset:2496
	global_load_dwordx4 v[16:19], v[24:25], off
	global_load_dwordx4 v[124:127], v[46:47], off offset:1216
	v_lshl_add_u64 v[28:29], v[24:25], 0, s[10:11]
	s_movk_i32 s14, 0x6000
	v_or_b32_e32 v61, 0x300, v210
	s_waitcnt vmcnt(25)
	v_mul_f64 v[8:9], v[38:39], v[90:91]
	v_mul_f64 v[10:11], v[36:37], v[90:91]
	v_fmac_f64_e32 v[8:9], v[36:37], v[88:89]
	s_waitcnt vmcnt(23)
	v_mul_f64 v[24:25], v[6:7], v[94:95]
	v_fmac_f64_e32 v[24:25], v[4:5], v[92:93]
	v_mul_f64 v[4:5], v[4:5], v[94:95]
	v_fma_f64 v[10:11], v[38:39], v[88:89], -v[10:11]
	v_fma_f64 v[26:27], v[6:7], v[92:93], -v[4:5]
	scratch_store_dwordx4 off, v[88:91], off offset:72 ; 16-byte Folded Spill
	ds_write_b128 v166, v[8:11] offset:20736
	global_load_dwordx4 v[8:11], v[28:29], off
	global_load_dwordx4 v[136:139], v[50:51], off offset:3136
	global_load_dwordx4 v[140:143], v[46:47], off offset:2176
	ds_write_b128 v166, v[24:27] offset:24192
	scratch_store_dwordx4 off, v[92:95], off offset:136 ; 16-byte Folded Spill
	s_waitcnt vmcnt(25)
	v_mul_f64 v[4:5], v[2:3], v[98:99]
	v_fmac_f64_e32 v[4:5], v[0:1], v[96:97]
	v_mul_f64 v[0:1], v[0:1], v[98:99]
	v_fma_f64 v[6:7], v[2:3], v[96:97], -v[0:1]
	ds_write_b128 v166, v[4:7] offset:27648
	v_lshl_add_u64 v[4:5], v[28:29], 0, s[10:11]
	scratch_store_dwordx4 off, v[96:99], off offset:280 ; 16-byte Folded Spill
	global_load_dwordx4 v[90:93], v[54:55], off offset:896
	global_load_dwordx4 v[144:147], v[54:55], off offset:3392
	s_waitcnt vmcnt(25)
	v_mul_f64 v[0:1], v[14:15], v[102:103]
	v_mul_f64 v[2:3], v[12:13], v[102:103]
	v_fmac_f64_e32 v[0:1], v[12:13], v[100:101]
	v_fma_f64 v[2:3], v[14:15], v[100:101], -v[2:3]
	global_load_dwordx4 v[12:15], v[4:5], off
	ds_write_b128 v166, v[0:3] offset:31104
	v_lshl_add_u64 v[0:1], v[4:5], 0, s[10:11]
	global_load_dwordx4 v[24:27], v[0:1], off
	v_lshl_add_u64 v[0:1], v[0:1], 0, s[10:11]
	global_load_dwordx4 v[28:31], v[0:1], off
	v_lshl_add_u64 v[6:7], v[0:1], 0, s[10:11]
	v_add_co_u32_e32 v0, vcc, s14, v164
	global_load_dwordx4 v[32:35], v[6:7], off
	s_nop 0
	v_addc_co_u32_e32 v1, vcc, 0, v165, vcc
	global_load_dwordx4 v[160:163], v[0:1], off offset:576
	s_waitcnt vmcnt(28)
	v_mul_f64 v[2:3], v[22:23], v[106:107]
	scratch_store_dwordx4 off, v[100:103], off offset:200 ; 16-byte Folded Spill
	v_mul_f64 v[4:5], v[20:21], v[106:107]
	scratch_store_dwordx4 off, v[104:107], off offset:248 ; 16-byte Folded Spill
	v_lshl_add_u64 v[6:7], v[6:7], 0, s[10:11]
	v_fmac_f64_e32 v[2:3], v[20:21], v[104:105]
	v_fma_f64 v[4:5], v[22:23], v[104:105], -v[4:5]
	global_load_dwordx4 v[20:23], v[6:7], off
	global_load_dwordx4 v[156:159], v[0:1], off offset:4032
	v_lshl_add_u64 v[6:7], v[6:7], 0, s[10:11]
	global_load_dwordx4 v[36:39], v[6:7], off
	ds_write_b128 v166, v[2:5] offset:960
	s_waitcnt vmcnt(29)
	v_mul_f64 v[2:3], v[42:43], v[122:123]
	v_mul_f64 v[4:5], v[40:41], v[122:123]
	v_lshl_add_u64 v[6:7], v[6:7], 0, s[18:19]
	v_fmac_f64_e32 v[2:3], v[40:41], v[120:121]
	v_fma_f64 v[4:5], v[42:43], v[120:121], -v[4:5]
	global_load_dwordx4 v[40:43], v[6:7], off
	v_lshl_add_u64 v[6:7], v[6:7], 0, s[10:11]
	v_mad_u64_u32 v[58:59], s[14:15], s8, v61, 0
	global_load_dwordx4 v[148:151], v[48:49], off offset:1280
	global_load_dwordx4 v[62:65], v[6:7], off
	v_mov_b32_e32 v70, v59
	v_lshl_add_u64 v[6:7], v[6:7], 0, s[10:11]
	v_mad_u64_u32 v[70:71], s[14:15], s9, v61, v[70:71]
	global_load_dwordx4 v[66:69], v[6:7], off
	v_mov_b32_e32 v59, v70
	v_lshl_add_u64 v[56:57], v[58:59], 4, v[56:57]
	scratch_store_dword off, v61, off offset:36 ; 4-byte Folded Spill
	v_lshlrev_b32_e32 v61, 4, v61
	global_load_dwordx4 v[56:59], v[56:57], off
	v_mad_u64_u32 v[6:7], s[8:9], s8, v60, v[6:7]
	global_load_dwordx4 v[152:155], v61, s[16:17]
	v_add_u32_e32 v7, s20, v7
	scratch_store_dwordx4 off, v[120:123], off offset:216 ; 16-byte Folded Spill
	scratch_store_dword off, v61, off offset:52 ; 4-byte Folded Spill
	global_load_dwordx4 v[70:73], v[6:7], off
	s_nop 0
	global_load_dwordx4 v[120:123], v[52:53], off offset:3456
	ds_write_b128 v166, v[2:5] offset:4416
	v_lshl_add_u64 v[6:7], v[6:7], 0, s[10:11]
	global_load_dwordx4 v[74:77], v[6:7], off
	global_load_dwordx4 v[98:101], v[44:45], off offset:2816
	s_waitcnt vmcnt(32)
	v_mul_f64 v[2:3], v[18:19], v[118:119]
	v_mul_f64 v[4:5], v[16:17], v[118:119]
	v_lshl_add_u64 v[60:61], v[6:7], 0, s[10:11]
	v_fmac_f64_e32 v[2:3], v[16:17], v[116:117]
	v_fma_f64 v[4:5], v[18:19], v[116:117], -v[4:5]
	global_load_dwordx4 v[16:19], v[60:61], off
	ds_write_b128 v166, v[2:5] offset:7872
	scratch_store_dwordx4 off, v[116:119], off offset:328 ; 16-byte Folded Spill
	v_lshl_add_u64 v[2:3], v[60:61], 0, s[10:11]
	global_load_dwordx4 v[78:81], v[2:3], off
	global_load_dwordx4 v[94:97], v[0:1], off offset:1536
	v_lshl_add_u64 v[2:3], v[2:3], 0, s[10:11]
	s_mov_b32 s8, 0x8000
	global_load_dwordx4 v[82:85], v[2:3], off
	v_lshl_add_u64 v[4:5], v[2:3], 0, s[10:11]
	v_add_co_u32_e32 v2, vcc, s8, v164
	global_load_dwordx4 v[86:89], v[4:5], off
	s_nop 0
	v_addc_co_u32_e32 v3, vcc, 0, v165, vcc
	global_load_dwordx4 v[102:105], v[2:3], off offset:256
	s_waitcnt vmcnt(35)
	v_mul_f64 v[6:7], v[10:11], v[138:139]
	v_fmac_f64_e32 v[6:7], v[8:9], v[136:137]
	v_mul_f64 v[8:9], v[8:9], v[138:139]
	v_fma_f64 v[8:9], v[10:11], v[136:137], -v[8:9]
	ds_write_b128 v166, v[6:9] offset:11328
	s_waitcnt vmcnt(29)
	v_mul_f64 v[6:7], v[14:15], v[134:135]
	v_mul_f64 v[8:9], v[12:13], v[134:135]
	v_fmac_f64_e32 v[6:7], v[12:13], v[132:133]
	v_fma_f64 v[8:9], v[14:15], v[132:133], -v[8:9]
	ds_write_b128 v166, v[6:9] offset:14784
	s_waitcnt vmcnt(28)
	v_mul_f64 v[6:7], v[26:27], v[130:131]
	v_mul_f64 v[8:9], v[24:25], v[130:131]
	v_fmac_f64_e32 v[6:7], v[24:25], v[128:129]
	v_fma_f64 v[8:9], v[26:27], v[128:129], -v[8:9]
	ds_write_b128 v166, v[6:9] offset:18240
	s_waitcnt vmcnt(27)
	v_mul_f64 v[6:7], v[30:31], v[126:127]
	v_mul_f64 v[8:9], v[28:29], v[126:127]
	v_fmac_f64_e32 v[6:7], v[28:29], v[124:125]
	v_fma_f64 v[8:9], v[30:31], v[124:125], -v[8:9]
	ds_write_b128 v166, v[6:9] offset:21696
	s_waitcnt vmcnt(25)
	v_mul_f64 v[6:7], v[34:35], v[162:163]
	v_mul_f64 v[8:9], v[32:33], v[162:163]
	v_fmac_f64_e32 v[6:7], v[32:33], v[160:161]
	v_fma_f64 v[8:9], v[34:35], v[160:161], -v[8:9]
	ds_write_b128 v166, v[6:9] offset:25152
	s_waitcnt vmcnt(21)
	v_mul_f64 v[6:7], v[22:23], v[158:159]
	v_mul_f64 v[8:9], v[20:21], v[158:159]
	v_fmac_f64_e32 v[6:7], v[20:21], v[156:157]
	v_fma_f64 v[8:9], v[22:23], v[156:157], -v[8:9]
	ds_write_b128 v166, v[6:9] offset:28608
	s_waitcnt vmcnt(20)
	v_mul_f64 v[6:7], v[38:39], v[146:147]
	v_mul_f64 v[8:9], v[36:37], v[146:147]
	v_fmac_f64_e32 v[6:7], v[36:37], v[144:145]
	v_fma_f64 v[8:9], v[38:39], v[144:145], -v[8:9]
	ds_write_b128 v166, v[6:9] offset:32064
	s_waitcnt vmcnt(19)
	v_mul_f64 v[6:7], v[42:43], v[110:111]
	v_mul_f64 v[8:9], v[40:41], v[110:111]
	v_fmac_f64_e32 v[6:7], v[40:41], v[108:109]
	v_fma_f64 v[8:9], v[42:43], v[108:109], -v[8:9]
	ds_write_b128 v166, v[6:9] offset:1920
	s_waitcnt vmcnt(17)
	v_mul_f64 v[6:7], v[64:65], v[150:151]
	v_mul_f64 v[8:9], v[62:63], v[150:151]
	v_fmac_f64_e32 v[6:7], v[62:63], v[148:149]
	v_fma_f64 v[8:9], v[64:65], v[148:149], -v[8:9]
	ds_write_b128 v166, v[6:9] offset:5376
	s_waitcnt vmcnt(16)
	v_mul_f64 v[6:7], v[68:69], v[114:115]
	v_mul_f64 v[8:9], v[66:67], v[114:115]
	v_fmac_f64_e32 v[6:7], v[66:67], v[112:113]
	v_fma_f64 v[8:9], v[68:69], v[112:113], -v[8:9]
	ds_write_b128 v166, v[6:9] offset:8832
	v_cmp_gt_u16_e32 vcc, 36, v210
	scratch_store_dwordx4 off, v[136:139], off offset:504 ; 16-byte Folded Spill
	s_waitcnt vmcnt(14)
	v_mul_f64 v[6:7], v[58:59], v[154:155]
	v_mul_f64 v[8:9], v[56:57], v[154:155]
	v_fmac_f64_e32 v[6:7], v[56:57], v[152:153]
	v_fma_f64 v[8:9], v[58:59], v[152:153], -v[8:9]
	ds_write_b128 v166, v[6:9] offset:12288
	s_waitcnt vmcnt(10)
	v_mul_f64 v[6:7], v[72:73], v[122:123]
	v_mul_f64 v[8:9], v[70:71], v[122:123]
	v_fmac_f64_e32 v[6:7], v[70:71], v[120:121]
	v_fma_f64 v[8:9], v[72:73], v[120:121], -v[8:9]
	ds_write_b128 v166, v[6:9] offset:15744
	;; [unrolled: 6-line block ×6, first 2 shown]
	s_waitcnt vmcnt(1)
	v_mul_f64 v[6:7], v[88:89], v[104:105]
	v_mul_f64 v[8:9], v[86:87], v[104:105]
	v_fmac_f64_e32 v[6:7], v[86:87], v[102:103]
	v_fma_f64 v[8:9], v[88:89], v[102:103], -v[8:9]
	scratch_store_dwordx4 off, v[132:135], off offset:488 ; 16-byte Folded Spill
	scratch_store_dwordx4 off, v[128:131], off offset:472 ; 16-byte Folded Spill
	;; [unrolled: 1-line block ×16, first 2 shown]
	ds_write_b128 v166, v[6:9] offset:33024
	s_and_saveexec_b64 s[8:9], vcc
	s_cbranch_execz .LBB0_3
; %bb.2:
	v_lshl_add_u64 v[16:17], s[12:13], 4, v[4:5]
	v_lshl_add_u64 v[20:21], v[16:17], 0, s[10:11]
	global_load_dwordx4 v[4:7], v[16:17], off
	global_load_dwordx4 v[8:11], v[164:165], off offset:2880
	global_load_dwordx4 v[12:15], v[48:49], off offset:2240
	v_lshl_add_u64 v[32:33], v[20:21], 0, s[10:11]
	global_load_dwordx4 v[16:19], v[20:21], off
	v_lshl_add_u64 v[36:37], v[32:33], 0, s[10:11]
	global_load_dwordx4 v[20:23], v[32:33], off
	global_load_dwordx4 v[24:27], v[50:51], off offset:1600
	global_load_dwordx4 v[28:31], v[52:53], off offset:960
	v_lshl_add_u64 v[52:53], v[36:37], 0, s[10:11]
	global_load_dwordx4 v[32:35], v[36:37], off
	s_nop 0
	global_load_dwordx4 v[36:39], v[52:53], off
	global_load_dwordx4 v[40:43], v[44:45], off offset:320
	global_load_dwordx4 v[48:51], v[44:45], off offset:3776
	v_lshl_add_u64 v[44:45], v[52:53], 0, s[10:11]
	global_load_dwordx4 v[56:59], v[44:45], off
	v_lshl_add_u64 v[52:53], v[44:45], 0, s[10:11]
	global_load_dwordx4 v[60:63], v[52:53], off
	s_nop 0
	global_load_dwordx4 v[44:47], v[46:47], off offset:3136
	s_nop 0
	global_load_dwordx4 v[64:67], v[0:1], off offset:2496
	v_lshl_add_u64 v[0:1], v[52:53], 0, s[10:11]
	v_lshl_add_u64 v[76:77], v[0:1], 0, s[10:11]
	global_load_dwordx4 v[68:71], v[0:1], off
	s_nop 0
	global_load_dwordx4 v[52:55], v[54:55], off offset:1856
	s_nop 0
	global_load_dwordx4 v[72:75], v[76:77], off
	s_nop 0
	global_load_dwordx4 v[0:3], v[2:3], off offset:1216
	v_lshl_add_u64 v[76:77], v[76:77], 0, s[10:11]
	global_load_dwordx4 v[76:79], v[76:77], off
	s_waitcnt vmcnt(18)
	v_mul_f64 v[80:81], v[6:7], v[10:11]
	v_mul_f64 v[10:11], v[4:5], v[10:11]
	v_fmac_f64_e32 v[80:81], v[4:5], v[8:9]
	v_fma_f64 v[82:83], v[6:7], v[8:9], -v[10:11]
	s_waitcnt vmcnt(16)
	v_mul_f64 v[4:5], v[18:19], v[14:15]
	v_mul_f64 v[6:7], v[16:17], v[14:15]
	v_fmac_f64_e32 v[4:5], v[16:17], v[12:13]
	v_fma_f64 v[6:7], v[18:19], v[12:13], -v[6:7]
	s_waitcnt vmcnt(14)
	v_mul_f64 v[8:9], v[22:23], v[26:27]
	v_mul_f64 v[10:11], v[20:21], v[26:27]
	ds_write_b128 v166, v[4:7] offset:6336
	s_waitcnt vmcnt(12)
	v_mul_f64 v[4:5], v[34:35], v[30:31]
	v_mul_f64 v[6:7], v[32:33], v[30:31]
	v_fmac_f64_e32 v[8:9], v[20:21], v[24:25]
	v_fma_f64 v[10:11], v[22:23], v[24:25], -v[10:11]
	v_fmac_f64_e32 v[4:5], v[32:33], v[28:29]
	v_fma_f64 v[6:7], v[34:35], v[28:29], -v[6:7]
	ds_write_b128 v166, v[8:11] offset:9792
	s_waitcnt vmcnt(10)
	v_mul_f64 v[8:9], v[38:39], v[42:43]
	v_mul_f64 v[10:11], v[36:37], v[42:43]
	ds_write_b128 v166, v[4:7] offset:13248
	s_waitcnt vmcnt(8)
	v_mul_f64 v[4:5], v[58:59], v[50:51]
	v_mul_f64 v[6:7], v[56:57], v[50:51]
	v_fmac_f64_e32 v[8:9], v[36:37], v[40:41]
	v_fma_f64 v[10:11], v[38:39], v[40:41], -v[10:11]
	v_fmac_f64_e32 v[4:5], v[56:57], v[48:49]
	v_fma_f64 v[6:7], v[58:59], v[48:49], -v[6:7]
	ds_write_b128 v166, v[8:11] offset:16704
	;; [unrolled: 12-line block ×4, first 2 shown]
	ds_write_b128 v166, v[8:11] offset:30528
	ds_write_b128 v166, v[4:7] offset:33984
.LBB0_3:
	s_or_b64 exec, exec, s[8:9]
	s_waitcnt lgkmcnt(0)
	; wave barrier
	s_waitcnt lgkmcnt(0)
	ds_read_b128 v[140:143], v166 offset:3456
	ds_read_b128 v[84:87], v166 offset:4416
	;; [unrolled: 1-line block ×28, first 2 shown]
	ds_read_b128 v[144:147], v166
	ds_read_b128 v[60:63], v166 offset:33024
	s_load_dwordx2 s[0:1], s[0:1], 0x8
                                        ; implicit-def: $vgpr28_vgpr29
                                        ; implicit-def: $vgpr0_vgpr1
                                        ; implicit-def: $vgpr4_vgpr5
                                        ; implicit-def: $vgpr8_vgpr9
                                        ; implicit-def: $vgpr12_vgpr13
                                        ; implicit-def: $vgpr16_vgpr17
                                        ; implicit-def: $vgpr20_vgpr21
                                        ; implicit-def: $vgpr24_vgpr25
                                        ; implicit-def: $vgpr32_vgpr33
                                        ; implicit-def: $vgpr36_vgpr37
	s_and_saveexec_b64 s[8:9], vcc
	s_cbranch_execz .LBB0_5
; %bb.4:
	ds_read_b128 v[0:3], v166 offset:6336
	ds_read_b128 v[4:7], v166 offset:9792
	;; [unrolled: 1-line block ×10, first 2 shown]
.LBB0_5:
	s_or_b64 exec, exec, s[8:9]
	s_mov_b64 s[8:9], 0x78
	v_lshl_add_u64 v[162:163], v[210:211], 0, s[8:9]
	s_mov_b64 s[8:9], 0xb4
	v_lshl_add_u64 v[160:161], v[210:211], 0, s[8:9]
	s_waitcnt lgkmcnt(0)
	v_add_f64 v[172:173], v[148:149], v[152:153]
	s_mov_b32 s8, 0x134454ff
	v_fma_f64 v[172:173], -0.5, v[172:173], v[144:145]
	v_add_f64 v[174:175], v[138:139], -v[158:159]
	s_mov_b32 s9, 0x3fee6f0e
	s_mov_b32 s10, 0x4755a5e
	;; [unrolled: 1-line block ×4, first 2 shown]
	v_fma_f64 v[176:177], s[8:9], v[174:175], v[172:173]
	v_add_f64 v[178:179], v[150:151], -v[154:155]
	s_mov_b32 s11, 0x3fe2cf23
	v_add_f64 v[180:181], v[136:137], -v[148:149]
	v_add_f64 v[182:183], v[156:157], -v[152:153]
	s_mov_b32 s12, 0x372fe950
	v_fmac_f64_e32 v[172:173], s[14:15], v[174:175]
	s_mov_b32 s19, 0xbfe2cf23
	s_mov_b32 s18, s10
	v_fmac_f64_e32 v[176:177], s[10:11], v[178:179]
	v_add_f64 v[180:181], v[180:181], v[182:183]
	s_mov_b32 s13, 0x3fd3c6ef
	v_fmac_f64_e32 v[172:173], s[18:19], v[178:179]
	v_fmac_f64_e32 v[176:177], s[12:13], v[180:181]
	;; [unrolled: 1-line block ×3, first 2 shown]
	v_add_f64 v[180:181], v[136:137], v[156:157]
	v_add_f64 v[168:169], v[144:145], v[136:137]
	v_fmac_f64_e32 v[144:145], -0.5, v[180:181]
	v_add_f64 v[168:169], v[168:169], v[148:149]
	v_fma_f64 v[180:181], s[14:15], v[178:179], v[144:145]
	v_add_f64 v[182:183], v[148:149], -v[136:137]
	v_add_f64 v[184:185], v[152:153], -v[156:157]
	v_fmac_f64_e32 v[144:145], s[8:9], v[178:179]
	v_add_f64 v[178:179], v[150:151], v[154:155]
	v_add_f64 v[168:169], v[168:169], v[152:153]
	v_fmac_f64_e32 v[180:181], s[10:11], v[174:175]
	v_add_f64 v[182:183], v[182:183], v[184:185]
	v_fmac_f64_e32 v[144:145], s[18:19], v[174:175]
	v_fma_f64 v[178:179], -0.5, v[178:179], v[146:147]
	v_add_f64 v[136:137], v[136:137], -v[156:157]
	v_add_f64 v[168:169], v[168:169], v[156:157]
	v_fmac_f64_e32 v[180:181], s[12:13], v[182:183]
	v_fmac_f64_e32 v[144:145], s[12:13], v[182:183]
	v_fma_f64 v[182:183], s[14:15], v[136:137], v[178:179]
	v_add_f64 v[148:149], v[148:149], -v[152:153]
	v_add_f64 v[152:153], v[138:139], -v[150:151]
	;; [unrolled: 1-line block ×3, first 2 shown]
	v_fmac_f64_e32 v[178:179], s[8:9], v[136:137]
	v_fmac_f64_e32 v[182:183], s[18:19], v[148:149]
	v_add_f64 v[152:153], v[152:153], v[156:157]
	v_fmac_f64_e32 v[178:179], s[10:11], v[148:149]
	v_fmac_f64_e32 v[182:183], s[12:13], v[152:153]
	;; [unrolled: 1-line block ×3, first 2 shown]
	v_add_f64 v[152:153], v[138:139], v[158:159]
	v_add_f64 v[174:175], v[146:147], v[138:139]
	v_fmac_f64_e32 v[146:147], -0.5, v[152:153]
	v_fma_f64 v[184:185], s[8:9], v[148:149], v[146:147]
	v_fmac_f64_e32 v[146:147], s[14:15], v[148:149]
	v_fmac_f64_e32 v[184:185], s[18:19], v[136:137]
	;; [unrolled: 1-line block ×3, first 2 shown]
	v_add_f64 v[136:137], v[140:141], v[120:121]
	v_add_f64 v[136:137], v[136:137], v[124:125]
	;; [unrolled: 1-line block ×4, first 2 shown]
	v_add_f64 v[138:139], v[150:151], -v[138:139]
	v_add_f64 v[150:151], v[154:155], -v[158:159]
	v_add_f64 v[148:149], v[136:137], v[132:133]
	v_add_f64 v[136:137], v[124:125], v[128:129]
	;; [unrolled: 1-line block ×3, first 2 shown]
	v_fma_f64 v[150:151], -0.5, v[136:137], v[140:141]
	v_add_f64 v[136:137], v[122:123], -v[134:135]
	v_add_f64 v[174:175], v[174:175], v[154:155]
	v_fmac_f64_e32 v[184:185], s[12:13], v[138:139]
	v_fmac_f64_e32 v[146:147], s[12:13], v[138:139]
	v_fma_f64 v[138:139], s[8:9], v[136:137], v[150:151]
	v_add_f64 v[152:153], v[126:127], -v[130:131]
	v_add_f64 v[154:155], v[120:121], -v[124:125]
	;; [unrolled: 1-line block ×3, first 2 shown]
	v_fmac_f64_e32 v[150:151], s[14:15], v[136:137]
	v_fmac_f64_e32 v[138:139], s[10:11], v[152:153]
	v_add_f64 v[154:155], v[154:155], v[156:157]
	v_fmac_f64_e32 v[150:151], s[18:19], v[152:153]
	v_fmac_f64_e32 v[138:139], s[12:13], v[154:155]
	;; [unrolled: 1-line block ×3, first 2 shown]
	v_add_f64 v[154:155], v[120:121], v[132:133]
	v_fmac_f64_e32 v[140:141], -0.5, v[154:155]
	v_fma_f64 v[154:155], s[14:15], v[152:153], v[140:141]
	v_fmac_f64_e32 v[140:141], s[8:9], v[152:153]
	v_fmac_f64_e32 v[154:155], s[10:11], v[136:137]
	;; [unrolled: 1-line block ×3, first 2 shown]
	v_add_f64 v[136:137], v[142:143], v[122:123]
	v_add_f64 v[136:137], v[136:137], v[126:127]
	;; [unrolled: 1-line block ×3, first 2 shown]
	v_add_f64 v[156:157], v[124:125], -v[120:121]
	v_add_f64 v[158:159], v[128:129], -v[132:133]
	v_add_f64 v[136:137], v[136:137], v[130:131]
	v_add_f64 v[156:157], v[156:157], v[158:159]
	;; [unrolled: 1-line block ×4, first 2 shown]
	v_fma_f64 v[152:153], -0.5, v[136:137], v[142:143]
	v_add_f64 v[120:121], v[120:121], -v[132:133]
	v_fmac_f64_e32 v[154:155], s[12:13], v[156:157]
	v_fmac_f64_e32 v[140:141], s[12:13], v[156:157]
	v_fma_f64 v[156:157], s[14:15], v[120:121], v[152:153]
	v_add_f64 v[124:125], v[124:125], -v[128:129]
	v_add_f64 v[128:129], v[122:123], -v[126:127]
	;; [unrolled: 1-line block ×3, first 2 shown]
	v_fmac_f64_e32 v[152:153], s[8:9], v[120:121]
	v_fmac_f64_e32 v[156:157], s[18:19], v[124:125]
	v_add_f64 v[128:129], v[128:129], v[132:133]
	v_fmac_f64_e32 v[152:153], s[10:11], v[124:125]
	v_fmac_f64_e32 v[156:157], s[12:13], v[128:129]
	;; [unrolled: 1-line block ×3, first 2 shown]
	v_add_f64 v[128:129], v[122:123], v[134:135]
	v_fmac_f64_e32 v[142:143], -0.5, v[128:129]
	v_fma_f64 v[186:187], s[8:9], v[124:125], v[142:143]
	v_add_f64 v[122:123], v[126:127], -v[122:123]
	v_add_f64 v[126:127], v[130:131], -v[134:135]
	v_fmac_f64_e32 v[142:143], s[14:15], v[124:125]
	v_fmac_f64_e32 v[186:187], s[18:19], v[120:121]
	v_add_f64 v[122:123], v[122:123], v[126:127]
	v_fmac_f64_e32 v[142:143], s[10:11], v[120:121]
	s_mov_b32 s20, 0x9b97f4a8
	v_fmac_f64_e32 v[186:187], s[12:13], v[122:123]
	v_fmac_f64_e32 v[142:143], s[12:13], v[122:123]
	s_mov_b32 s21, 0x3fe9e377
	v_mul_f64 v[122:123], v[140:141], s[12:13]
	v_fma_f64 v[192:193], v[142:143], s[8:9], -v[122:123]
	v_mul_f64 v[122:123], v[150:151], s[20:21]
	v_fma_f64 v[194:195], v[152:153], s[10:11], -v[122:123]
	v_mul_f64 v[130:131], v[142:143], s[12:13]
	v_mul_f64 v[188:189], v[138:139], s[20:21]
	;; [unrolled: 1-line block ×3, first 2 shown]
	v_add_f64 v[128:129], v[172:173], v[194:195]
	v_mul_f64 v[196:197], v[138:139], s[18:19]
	v_mul_f64 v[198:199], v[154:155], s[14:15]
	v_fma_f64 v[142:143], v[140:141], s[14:15], -v[130:131]
	v_mul_f64 v[130:131], v[152:153], s[20:21]
	v_add_f64 v[140:141], v[172:173], -v[194:195]
	v_add_f64 v[172:173], v[108:109], v[112:113]
	v_fmac_f64_e32 v[188:189], s[10:11], v[156:157]
	v_fmac_f64_e32 v[190:191], s[12:13], v[154:155]
	v_add_f64 v[122:123], v[174:175], v[158:159]
	v_fmac_f64_e32 v[196:197], s[20:21], v[156:157]
	v_fmac_f64_e32 v[198:199], s[12:13], v[186:187]
	v_fma_f64 v[186:187], v[150:151], s[18:19], -v[130:131]
	v_add_f64 v[158:159], v[174:175], -v[158:159]
	v_fma_f64 v[172:173], -0.5, v[172:173], v[80:81]
	v_add_f64 v[174:175], v[106:107], -v[118:119]
	v_add_f64 v[120:121], v[168:169], v[148:149]
	v_add_f64 v[124:125], v[176:177], v[188:189]
	;; [unrolled: 1-line block ×6, first 2 shown]
	v_add_f64 v[156:157], v[168:169], -v[148:149]
	v_add_f64 v[152:153], v[176:177], -v[188:189]
	v_add_f64 v[148:149], v[180:181], -v[190:191]
	v_add_f64 v[154:155], v[182:183], -v[196:197]
	v_add_f64 v[146:147], v[146:147], -v[142:143]
	v_add_f64 v[142:143], v[178:179], -v[186:187]
	v_fma_f64 v[176:177], s[8:9], v[174:175], v[172:173]
	v_add_f64 v[178:179], v[110:111], -v[114:115]
	v_add_f64 v[180:181], v[104:105], -v[108:109]
	;; [unrolled: 1-line block ×3, first 2 shown]
	v_fmac_f64_e32 v[172:173], s[14:15], v[174:175]
	v_fmac_f64_e32 v[176:177], s[10:11], v[178:179]
	v_add_f64 v[180:181], v[180:181], v[182:183]
	v_fmac_f64_e32 v[172:173], s[18:19], v[178:179]
	v_fmac_f64_e32 v[176:177], s[12:13], v[180:181]
	v_fmac_f64_e32 v[172:173], s[12:13], v[180:181]
	v_add_f64 v[180:181], v[104:105], v[116:117]
	v_add_f64 v[168:169], v[80:81], v[104:105]
	v_fmac_f64_e32 v[80:81], -0.5, v[180:181]
	v_add_f64 v[138:139], v[184:185], v[198:199]
	v_add_f64 v[150:151], v[184:185], -v[198:199]
	v_add_f64 v[168:169], v[168:169], v[108:109]
	v_fma_f64 v[180:181], s[14:15], v[178:179], v[80:81]
	v_add_f64 v[182:183], v[108:109], -v[104:105]
	v_add_f64 v[184:185], v[112:113], -v[116:117]
	v_fmac_f64_e32 v[80:81], s[8:9], v[178:179]
	v_add_f64 v[178:179], v[110:111], v[114:115]
	v_add_f64 v[168:169], v[168:169], v[112:113]
	v_fmac_f64_e32 v[180:181], s[10:11], v[174:175]
	v_add_f64 v[182:183], v[182:183], v[184:185]
	v_fmac_f64_e32 v[80:81], s[18:19], v[174:175]
	v_fma_f64 v[178:179], -0.5, v[178:179], v[82:83]
	v_add_f64 v[104:105], v[104:105], -v[116:117]
	v_add_f64 v[168:169], v[168:169], v[116:117]
	v_fmac_f64_e32 v[180:181], s[12:13], v[182:183]
	v_fmac_f64_e32 v[80:81], s[12:13], v[182:183]
	v_fma_f64 v[182:183], s[14:15], v[104:105], v[178:179]
	v_add_f64 v[108:109], v[108:109], -v[112:113]
	v_add_f64 v[112:113], v[106:107], -v[110:111]
	;; [unrolled: 1-line block ×3, first 2 shown]
	v_fmac_f64_e32 v[178:179], s[8:9], v[104:105]
	v_fmac_f64_e32 v[182:183], s[18:19], v[108:109]
	v_add_f64 v[112:113], v[112:113], v[116:117]
	v_fmac_f64_e32 v[178:179], s[10:11], v[108:109]
	v_fmac_f64_e32 v[182:183], s[12:13], v[112:113]
	;; [unrolled: 1-line block ×3, first 2 shown]
	v_add_f64 v[112:113], v[106:107], v[118:119]
	v_add_f64 v[174:175], v[82:83], v[106:107]
	v_fmac_f64_e32 v[82:83], -0.5, v[112:113]
	v_fma_f64 v[184:185], s[8:9], v[108:109], v[82:83]
	v_fmac_f64_e32 v[82:83], s[14:15], v[108:109]
	v_fmac_f64_e32 v[184:185], s[18:19], v[104:105]
	;; [unrolled: 1-line block ×3, first 2 shown]
	v_add_f64 v[104:105], v[84:85], v[88:89]
	v_add_f64 v[104:105], v[104:105], v[92:93]
	;; [unrolled: 1-line block ×4, first 2 shown]
	v_add_f64 v[106:107], v[110:111], -v[106:107]
	v_add_f64 v[110:111], v[114:115], -v[118:119]
	v_add_f64 v[108:109], v[104:105], v[100:101]
	v_add_f64 v[104:105], v[92:93], v[96:97]
	;; [unrolled: 1-line block ×3, first 2 shown]
	v_fma_f64 v[110:111], -0.5, v[104:105], v[84:85]
	v_add_f64 v[104:105], v[90:91], -v[102:103]
	v_add_f64 v[174:175], v[174:175], v[114:115]
	v_fmac_f64_e32 v[184:185], s[12:13], v[106:107]
	v_fmac_f64_e32 v[82:83], s[12:13], v[106:107]
	v_fma_f64 v[106:107], s[8:9], v[104:105], v[110:111]
	v_add_f64 v[112:113], v[94:95], -v[98:99]
	v_add_f64 v[114:115], v[88:89], -v[92:93]
	;; [unrolled: 1-line block ×3, first 2 shown]
	v_fmac_f64_e32 v[110:111], s[14:15], v[104:105]
	v_fmac_f64_e32 v[106:107], s[10:11], v[112:113]
	v_add_f64 v[114:115], v[114:115], v[116:117]
	v_fmac_f64_e32 v[110:111], s[18:19], v[112:113]
	v_fmac_f64_e32 v[106:107], s[12:13], v[114:115]
	;; [unrolled: 1-line block ×3, first 2 shown]
	v_add_f64 v[114:115], v[88:89], v[100:101]
	v_fmac_f64_e32 v[84:85], -0.5, v[114:115]
	v_fma_f64 v[114:115], s[14:15], v[112:113], v[84:85]
	v_fmac_f64_e32 v[84:85], s[8:9], v[112:113]
	v_fmac_f64_e32 v[114:115], s[10:11], v[104:105]
	;; [unrolled: 1-line block ×3, first 2 shown]
	v_add_f64 v[104:105], v[86:87], v[90:91]
	v_add_f64 v[104:105], v[104:105], v[94:95]
	;; [unrolled: 1-line block ×3, first 2 shown]
	v_add_f64 v[116:117], v[92:93], -v[88:89]
	v_add_f64 v[118:119], v[96:97], -v[100:101]
	v_add_f64 v[104:105], v[104:105], v[98:99]
	v_add_f64 v[116:117], v[116:117], v[118:119]
	;; [unrolled: 1-line block ×4, first 2 shown]
	v_fma_f64 v[112:113], -0.5, v[104:105], v[86:87]
	v_add_f64 v[88:89], v[88:89], -v[100:101]
	v_fmac_f64_e32 v[114:115], s[12:13], v[116:117]
	v_fmac_f64_e32 v[84:85], s[12:13], v[116:117]
	v_fma_f64 v[116:117], s[14:15], v[88:89], v[112:113]
	v_add_f64 v[92:93], v[92:93], -v[96:97]
	v_add_f64 v[96:97], v[90:91], -v[94:95]
	;; [unrolled: 1-line block ×3, first 2 shown]
	v_fmac_f64_e32 v[112:113], s[8:9], v[88:89]
	v_fmac_f64_e32 v[116:117], s[18:19], v[92:93]
	v_add_f64 v[96:97], v[96:97], v[100:101]
	v_fmac_f64_e32 v[112:113], s[10:11], v[92:93]
	v_fmac_f64_e32 v[116:117], s[12:13], v[96:97]
	;; [unrolled: 1-line block ×3, first 2 shown]
	v_add_f64 v[96:97], v[90:91], v[102:103]
	v_fmac_f64_e32 v[86:87], -0.5, v[96:97]
	v_fma_f64 v[186:187], s[8:9], v[92:93], v[86:87]
	v_add_f64 v[90:91], v[94:95], -v[90:91]
	v_add_f64 v[94:95], v[98:99], -v[102:103]
	v_fmac_f64_e32 v[86:87], s[14:15], v[92:93]
	v_fmac_f64_e32 v[186:187], s[18:19], v[88:89]
	v_add_f64 v[90:91], v[90:91], v[94:95]
	v_fmac_f64_e32 v[86:87], s[10:11], v[88:89]
	v_fmac_f64_e32 v[186:187], s[12:13], v[90:91]
	;; [unrolled: 1-line block ×3, first 2 shown]
	v_mul_f64 v[90:91], v[84:85], s[12:13]
	v_add_f64 v[132:133], v[144:145], v[192:193]
	v_add_f64 v[144:145], v[144:145], -v[192:193]
	v_fma_f64 v[192:193], v[86:87], s[8:9], -v[90:91]
	v_mul_f64 v[90:91], v[110:111], s[20:21]
	v_mul_f64 v[86:87], v[86:87], s[12:13]
	v_fma_f64 v[194:195], v[112:113], s[10:11], -v[90:91]
	v_mul_f64 v[198:199], v[114:115], s[14:15]
	v_fma_f64 v[86:87], v[84:85], s[14:15], -v[86:87]
	v_mul_f64 v[84:85], v[112:113], s[20:21]
	v_mul_f64 v[188:189], v[106:107], s[20:21]
	;; [unrolled: 1-line block ×3, first 2 shown]
	v_add_f64 v[100:101], v[80:81], v[192:193]
	v_add_f64 v[96:97], v[172:173], v[194:195]
	v_mul_f64 v[196:197], v[106:107], s[18:19]
	v_fmac_f64_e32 v[198:199], s[12:13], v[186:187]
	v_fma_f64 v[186:187], v[110:111], s[18:19], -v[84:85]
	v_add_f64 v[84:85], v[80:81], -v[192:193]
	v_add_f64 v[80:81], v[172:173], -v[194:195]
	v_add_f64 v[172:173], v[68:69], v[72:73]
	v_fmac_f64_e32 v[188:189], s[10:11], v[116:117]
	v_fmac_f64_e32 v[190:191], s[12:13], v[114:115]
	v_add_f64 v[90:91], v[174:175], v[118:119]
	v_fmac_f64_e32 v[196:197], s[20:21], v[116:117]
	v_add_f64 v[118:119], v[174:175], -v[118:119]
	v_fma_f64 v[172:173], -0.5, v[172:173], v[40:41]
	v_add_f64 v[174:175], v[66:67], -v[78:79]
	v_add_f64 v[88:89], v[168:169], v[108:109]
	v_add_f64 v[92:93], v[176:177], v[188:189]
	;; [unrolled: 1-line block ×6, first 2 shown]
	v_add_f64 v[116:117], v[168:169], -v[108:109]
	v_add_f64 v[112:113], v[176:177], -v[188:189]
	v_add_f64 v[108:109], v[180:181], -v[190:191]
	v_add_f64 v[114:115], v[182:183], -v[196:197]
	v_add_f64 v[86:87], v[82:83], -v[86:87]
	v_add_f64 v[82:83], v[178:179], -v[186:187]
	v_fma_f64 v[176:177], s[8:9], v[174:175], v[172:173]
	v_add_f64 v[178:179], v[70:71], -v[74:75]
	v_add_f64 v[180:181], v[64:65], -v[68:69]
	;; [unrolled: 1-line block ×3, first 2 shown]
	v_fmac_f64_e32 v[172:173], s[14:15], v[174:175]
	v_fmac_f64_e32 v[176:177], s[10:11], v[178:179]
	v_add_f64 v[180:181], v[180:181], v[182:183]
	v_fmac_f64_e32 v[172:173], s[18:19], v[178:179]
	v_fmac_f64_e32 v[176:177], s[12:13], v[180:181]
	;; [unrolled: 1-line block ×3, first 2 shown]
	v_add_f64 v[180:181], v[64:65], v[76:77]
	v_add_f64 v[168:169], v[40:41], v[64:65]
	v_fmac_f64_e32 v[40:41], -0.5, v[180:181]
	v_add_f64 v[106:107], v[184:185], v[198:199]
	v_add_f64 v[110:111], v[184:185], -v[198:199]
	v_add_f64 v[168:169], v[168:169], v[68:69]
	v_fma_f64 v[180:181], s[14:15], v[178:179], v[40:41]
	v_add_f64 v[182:183], v[68:69], -v[64:65]
	v_add_f64 v[184:185], v[72:73], -v[76:77]
	v_fmac_f64_e32 v[40:41], s[8:9], v[178:179]
	v_add_f64 v[178:179], v[70:71], v[74:75]
	v_add_f64 v[168:169], v[168:169], v[72:73]
	v_fmac_f64_e32 v[180:181], s[10:11], v[174:175]
	v_add_f64 v[182:183], v[182:183], v[184:185]
	v_fmac_f64_e32 v[40:41], s[18:19], v[174:175]
	v_fma_f64 v[178:179], -0.5, v[178:179], v[42:43]
	v_add_f64 v[64:65], v[64:65], -v[76:77]
	v_add_f64 v[168:169], v[168:169], v[76:77]
	v_fmac_f64_e32 v[180:181], s[12:13], v[182:183]
	v_fmac_f64_e32 v[40:41], s[12:13], v[182:183]
	v_fma_f64 v[182:183], s[14:15], v[64:65], v[178:179]
	v_add_f64 v[68:69], v[68:69], -v[72:73]
	v_add_f64 v[72:73], v[66:67], -v[70:71]
	;; [unrolled: 1-line block ×3, first 2 shown]
	v_fmac_f64_e32 v[178:179], s[8:9], v[64:65]
	v_fmac_f64_e32 v[182:183], s[18:19], v[68:69]
	v_add_f64 v[72:73], v[72:73], v[76:77]
	v_fmac_f64_e32 v[178:179], s[10:11], v[68:69]
	v_fmac_f64_e32 v[182:183], s[12:13], v[72:73]
	;; [unrolled: 1-line block ×3, first 2 shown]
	v_add_f64 v[72:73], v[66:67], v[78:79]
	v_add_f64 v[174:175], v[42:43], v[66:67]
	v_fmac_f64_e32 v[42:43], -0.5, v[72:73]
	v_fma_f64 v[184:185], s[8:9], v[68:69], v[42:43]
	v_fmac_f64_e32 v[42:43], s[14:15], v[68:69]
	v_fmac_f64_e32 v[184:185], s[18:19], v[64:65]
	v_fmac_f64_e32 v[42:43], s[10:11], v[64:65]
	v_add_f64 v[64:65], v[44:45], v[48:49]
	v_add_f64 v[64:65], v[64:65], v[52:53]
	;; [unrolled: 1-line block ×4, first 2 shown]
	v_add_f64 v[66:67], v[70:71], -v[66:67]
	v_add_f64 v[70:71], v[74:75], -v[78:79]
	v_add_f64 v[68:69], v[64:65], v[60:61]
	v_add_f64 v[64:65], v[52:53], v[56:57]
	;; [unrolled: 1-line block ×3, first 2 shown]
	v_fma_f64 v[70:71], -0.5, v[64:65], v[44:45]
	v_add_f64 v[64:65], v[50:51], -v[62:63]
	v_add_f64 v[174:175], v[174:175], v[74:75]
	v_fmac_f64_e32 v[184:185], s[12:13], v[66:67]
	v_fmac_f64_e32 v[42:43], s[12:13], v[66:67]
	v_fma_f64 v[66:67], s[8:9], v[64:65], v[70:71]
	v_add_f64 v[72:73], v[54:55], -v[58:59]
	v_add_f64 v[74:75], v[48:49], -v[52:53]
	;; [unrolled: 1-line block ×3, first 2 shown]
	v_fmac_f64_e32 v[70:71], s[14:15], v[64:65]
	v_fmac_f64_e32 v[66:67], s[10:11], v[72:73]
	v_add_f64 v[74:75], v[74:75], v[76:77]
	v_fmac_f64_e32 v[70:71], s[18:19], v[72:73]
	v_fmac_f64_e32 v[66:67], s[12:13], v[74:75]
	v_fmac_f64_e32 v[70:71], s[12:13], v[74:75]
	v_add_f64 v[74:75], v[48:49], v[60:61]
	v_fmac_f64_e32 v[44:45], -0.5, v[74:75]
	v_fma_f64 v[74:75], s[14:15], v[72:73], v[44:45]
	v_fmac_f64_e32 v[44:45], s[8:9], v[72:73]
	v_fmac_f64_e32 v[74:75], s[10:11], v[64:65]
	;; [unrolled: 1-line block ×3, first 2 shown]
	v_add_f64 v[64:65], v[46:47], v[50:51]
	v_add_f64 v[64:65], v[64:65], v[54:55]
	;; [unrolled: 1-line block ×3, first 2 shown]
	v_add_f64 v[76:77], v[52:53], -v[48:49]
	v_add_f64 v[78:79], v[56:57], -v[60:61]
	v_add_f64 v[64:65], v[64:65], v[58:59]
	v_add_f64 v[76:77], v[76:77], v[78:79]
	;; [unrolled: 1-line block ×4, first 2 shown]
	v_fma_f64 v[72:73], -0.5, v[64:65], v[46:47]
	v_add_f64 v[48:49], v[48:49], -v[60:61]
	v_fmac_f64_e32 v[74:75], s[12:13], v[76:77]
	v_fmac_f64_e32 v[44:45], s[12:13], v[76:77]
	v_fma_f64 v[76:77], s[14:15], v[48:49], v[72:73]
	v_add_f64 v[52:53], v[52:53], -v[56:57]
	v_add_f64 v[56:57], v[50:51], -v[54:55]
	;; [unrolled: 1-line block ×3, first 2 shown]
	v_fmac_f64_e32 v[72:73], s[8:9], v[48:49]
	v_fmac_f64_e32 v[76:77], s[18:19], v[52:53]
	v_add_f64 v[56:57], v[56:57], v[60:61]
	v_fmac_f64_e32 v[72:73], s[10:11], v[52:53]
	v_fmac_f64_e32 v[76:77], s[12:13], v[56:57]
	;; [unrolled: 1-line block ×3, first 2 shown]
	v_add_f64 v[56:57], v[50:51], v[62:63]
	v_fmac_f64_e32 v[46:47], -0.5, v[56:57]
	v_fma_f64 v[186:187], s[8:9], v[52:53], v[46:47]
	v_add_f64 v[50:51], v[54:55], -v[50:51]
	v_add_f64 v[54:55], v[58:59], -v[62:63]
	v_fmac_f64_e32 v[46:47], s[14:15], v[52:53]
	v_fmac_f64_e32 v[186:187], s[18:19], v[48:49]
	v_add_f64 v[50:51], v[50:51], v[54:55]
	v_fmac_f64_e32 v[46:47], s[10:11], v[48:49]
	v_fmac_f64_e32 v[186:187], s[12:13], v[50:51]
	;; [unrolled: 1-line block ×3, first 2 shown]
	v_mul_f64 v[50:51], v[44:45], s[12:13]
	v_fma_f64 v[192:193], v[46:47], s[8:9], -v[50:51]
	v_mul_f64 v[46:47], v[46:47], s[12:13]
	v_mul_f64 v[188:189], v[66:67], s[20:21]
	;; [unrolled: 1-line block ×5, first 2 shown]
	v_fma_f64 v[46:47], v[44:45], s[14:15], -v[46:47]
	v_mul_f64 v[44:45], v[72:73], s[20:21]
	v_add_f64 v[48:49], v[168:169], v[68:69]
	v_fmac_f64_e32 v[188:189], s[10:11], v[76:77]
	v_mul_f64 v[190:191], v[186:187], s[8:9]
	v_fma_f64 v[194:195], v[72:73], s[10:11], -v[50:51]
	v_fmac_f64_e32 v[196:197], s[20:21], v[76:77]
	v_fmac_f64_e32 v[198:199], s[12:13], v[186:187]
	v_fma_f64 v[186:187], v[70:71], s[18:19], -v[44:45]
	v_add_f64 v[76:77], v[168:169], -v[68:69]
	v_add_f64 v[168:169], v[12:13], v[20:21]
	v_fmac_f64_e32 v[190:191], s[12:13], v[74:75]
	v_add_f64 v[60:61], v[40:41], v[192:193]
	v_add_f64 v[56:57], v[172:173], v[194:195]
	;; [unrolled: 1-line block ×4, first 2 shown]
	v_add_f64 v[44:45], v[40:41], -v[192:193]
	v_add_f64 v[40:41], v[172:173], -v[194:195]
	v_add_f64 v[46:47], v[42:43], -v[46:47]
	v_add_f64 v[42:43], v[178:179], -v[186:187]
	v_fma_f64 v[172:173], -0.5, v[168:169], v[28:29]
	v_add_f64 v[178:179], v[6:7], -v[34:35]
	v_add_f64 v[52:53], v[176:177], v[188:189]
	v_add_f64 v[64:65], v[180:181], v[190:191]
	;; [unrolled: 1-line block ×3, first 2 shown]
	v_add_f64 v[72:73], v[176:177], -v[188:189]
	v_add_f64 v[68:69], v[180:181], -v[190:191]
	;; [unrolled: 1-line block ×3, first 2 shown]
	v_fma_f64 v[168:169], s[8:9], v[178:179], v[172:173]
	v_add_f64 v[180:181], v[14:15], -v[22:23]
	v_add_f64 v[174:175], v[4:5], -v[12:13]
	;; [unrolled: 1-line block ×3, first 2 shown]
	v_fmac_f64_e32 v[172:173], s[14:15], v[178:179]
	v_fmac_f64_e32 v[168:169], s[10:11], v[180:181]
	v_add_f64 v[174:175], v[174:175], v[176:177]
	v_fmac_f64_e32 v[172:173], s[18:19], v[180:181]
	v_fmac_f64_e32 v[168:169], s[12:13], v[174:175]
	;; [unrolled: 1-line block ×3, first 2 shown]
	v_add_f64 v[174:175], v[4:5], v[32:33]
	v_fma_f64 v[176:177], -0.5, v[174:175], v[28:29]
	v_fma_f64 v[174:175], s[14:15], v[180:181], v[176:177]
	v_fmac_f64_e32 v[176:177], s[8:9], v[180:181]
	v_add_f64 v[54:55], v[182:183], v[196:197]
	v_add_f64 v[66:67], v[184:185], v[198:199]
	v_add_f64 v[74:75], v[182:183], -v[196:197]
	v_add_f64 v[70:71], v[184:185], -v[198:199]
	v_fmac_f64_e32 v[174:175], s[10:11], v[178:179]
	v_add_f64 v[182:183], v[12:13], -v[4:5]
	v_add_f64 v[184:185], v[20:21], -v[32:33]
	v_fmac_f64_e32 v[176:177], s[18:19], v[178:179]
	v_add_f64 v[178:179], v[14:15], v[22:23]
	v_add_f64 v[182:183], v[182:183], v[184:185]
	v_fma_f64 v[180:181], -0.5, v[178:179], v[30:31]
	v_add_f64 v[186:187], v[4:5], -v[32:33]
	v_fmac_f64_e32 v[174:175], s[12:13], v[182:183]
	v_fmac_f64_e32 v[176:177], s[12:13], v[182:183]
	v_fma_f64 v[178:179], s[14:15], v[186:187], v[180:181]
	v_add_f64 v[188:189], v[12:13], -v[20:21]
	v_add_f64 v[182:183], v[6:7], -v[14:15]
	;; [unrolled: 1-line block ×3, first 2 shown]
	v_fmac_f64_e32 v[180:181], s[8:9], v[186:187]
	v_fmac_f64_e32 v[178:179], s[18:19], v[188:189]
	v_add_f64 v[182:183], v[182:183], v[184:185]
	v_fmac_f64_e32 v[180:181], s[10:11], v[188:189]
	v_fmac_f64_e32 v[178:179], s[12:13], v[182:183]
	;; [unrolled: 1-line block ×3, first 2 shown]
	v_add_f64 v[182:183], v[6:7], v[34:35]
	v_fma_f64 v[184:185], -0.5, v[182:183], v[30:31]
	v_fma_f64 v[182:183], s[8:9], v[188:189], v[184:185]
	v_fmac_f64_e32 v[184:185], s[14:15], v[188:189]
	v_fmac_f64_e32 v[182:183], s[18:19], v[186:187]
	v_add_f64 v[190:191], v[14:15], -v[6:7]
	v_add_f64 v[192:193], v[22:23], -v[34:35]
	v_fmac_f64_e32 v[184:185], s[10:11], v[186:187]
	v_add_f64 v[186:187], v[16:17], v[24:25]
	v_add_f64 v[190:191], v[190:191], v[192:193]
	v_fma_f64 v[200:201], -0.5, v[186:187], v[0:1]
	v_add_f64 v[186:187], v[10:11], -v[38:39]
	v_fmac_f64_e32 v[182:183], s[12:13], v[190:191]
	v_fmac_f64_e32 v[184:185], s[12:13], v[190:191]
	v_fma_f64 v[194:195], s[8:9], v[186:187], v[200:201]
	v_add_f64 v[188:189], v[18:19], -v[26:27]
	v_add_f64 v[190:191], v[8:9], -v[16:17]
	;; [unrolled: 1-line block ×3, first 2 shown]
	v_fmac_f64_e32 v[200:201], s[14:15], v[186:187]
	v_fmac_f64_e32 v[194:195], s[10:11], v[188:189]
	v_add_f64 v[190:191], v[190:191], v[192:193]
	v_fmac_f64_e32 v[200:201], s[18:19], v[188:189]
	v_fmac_f64_e32 v[194:195], s[12:13], v[190:191]
	;; [unrolled: 1-line block ×3, first 2 shown]
	v_add_f64 v[190:191], v[8:9], v[36:37]
	v_fma_f64 v[198:199], -0.5, v[190:191], v[0:1]
	v_fma_f64 v[196:197], s[14:15], v[188:189], v[198:199]
	v_fmac_f64_e32 v[198:199], s[8:9], v[188:189]
	v_fmac_f64_e32 v[196:197], s[10:11], v[186:187]
	v_add_f64 v[190:191], v[16:17], -v[8:9]
	v_add_f64 v[192:193], v[24:25], -v[36:37]
	v_fmac_f64_e32 v[198:199], s[18:19], v[186:187]
	v_add_f64 v[186:187], v[18:19], v[26:27]
	v_add_f64 v[190:191], v[190:191], v[192:193]
	v_fma_f64 v[202:203], -0.5, v[186:187], v[2:3]
	v_add_f64 v[186:187], v[8:9], -v[36:37]
	v_fmac_f64_e32 v[196:197], s[12:13], v[190:191]
	v_fmac_f64_e32 v[198:199], s[12:13], v[190:191]
	v_fma_f64 v[204:205], s[14:15], v[186:187], v[202:203]
	v_add_f64 v[188:189], v[16:17], -v[24:25]
	v_add_f64 v[190:191], v[10:11], -v[18:19]
	v_add_f64 v[192:193], v[38:39], -v[26:27]
	v_fmac_f64_e32 v[202:203], s[8:9], v[186:187]
	v_fmac_f64_e32 v[204:205], s[18:19], v[188:189]
	v_add_f64 v[190:191], v[190:191], v[192:193]
	v_fmac_f64_e32 v[202:203], s[10:11], v[188:189]
	v_fmac_f64_e32 v[204:205], s[12:13], v[190:191]
	;; [unrolled: 1-line block ×3, first 2 shown]
	v_add_f64 v[190:191], v[10:11], v[38:39]
	v_fma_f64 v[206:207], -0.5, v[190:191], v[2:3]
	v_fma_f64 v[208:209], s[8:9], v[188:189], v[206:207]
	v_add_f64 v[190:191], v[18:19], -v[10:11]
	v_add_f64 v[192:193], v[26:27], -v[38:39]
	v_fmac_f64_e32 v[208:209], s[18:19], v[186:187]
	v_add_f64 v[190:191], v[190:191], v[192:193]
	v_fmac_f64_e32 v[206:207], s[14:15], v[188:189]
	v_mul_lo_u16_e32 v161, 10, v210
	v_lshl_add_u64 v[170:171], v[210:211], 0, 60
	v_fmac_f64_e32 v[208:209], s[12:13], v[190:191]
	v_fmac_f64_e32 v[206:207], s[10:11], v[186:187]
	v_lshlrev_b32_e32 v161, 4, v161
	v_fmac_f64_e32 v[206:207], s[12:13], v[190:191]
	v_mul_f64 v[186:187], v[194:195], s[20:21]
	v_mul_f64 v[188:189], v[208:209], s[8:9]
	;; [unrolled: 1-line block ×5, first 2 shown]
	s_waitcnt lgkmcnt(0)
	; wave barrier
	ds_write_b128 v161, v[120:123]
	ds_write_b128 v161, v[124:127] offset:16
	ds_write_b128 v161, v[136:139] offset:32
	;; [unrolled: 1-line block ×8, first 2 shown]
	v_mul_u32_u24_e32 v120, 10, v170
	v_fmac_f64_e32 v[186:187], s[10:11], v[204:205]
	v_fmac_f64_e32 v[188:189], s[12:13], v[196:197]
	v_fma_f64 v[190:191], v[206:207], s[8:9], -v[190:191]
	v_fma_f64 v[192:193], v[202:203], s[10:11], -v[192:193]
	v_fmac_f64_e32 v[194:195], s[20:21], v[204:205]
	v_mul_f64 v[196:197], v[196:197], s[14:15]
	v_mul_f64 v[204:205], v[206:207], s[12:13]
	;; [unrolled: 1-line block ×3, first 2 shown]
	v_lshlrev_b32_e32 v120, 4, v120
	v_fmac_f64_e32 v[196:197], s[12:13], v[208:209]
	v_fma_f64 v[198:199], v[198:199], s[14:15], -v[204:205]
	v_fma_f64 v[200:201], v[200:201], s[18:19], -v[202:203]
	v_add_f64 v[202:203], v[168:169], -v[186:187]
	v_add_f64 v[206:207], v[174:175], -v[188:189]
	;; [unrolled: 1-line block ×4, first 2 shown]
	scratch_store_dword off, v161, off offset:40 ; 4-byte Folded Spill
	ds_write_b128 v161, v[140:143] offset:144
	ds_write_b128 v120, v[88:91]
	ds_write_b128 v120, v[92:95] offset:16
	ds_write_b128 v120, v[104:107] offset:32
	;; [unrolled: 1-line block ×9, first 2 shown]
	v_mul_u32_u24_e32 v80, 10, v162
	v_add_f64 v[204:205], v[178:179], -v[194:195]
	v_accvgpr_write_b32 a124, v202
	v_add_f64 v[208:209], v[182:183], -v[196:197]
	v_accvgpr_write_b32 a128, v206
	;; [unrolled: 2-line block ×4, first 2 shown]
	v_lshlrev_b32_e32 v167, 4, v80
	v_accvgpr_write_b32 a125, v203
	v_accvgpr_write_b32 a126, v204
	;; [unrolled: 1-line block ×12, first 2 shown]
	scratch_store_dword off, v120, off offset:44 ; 4-byte Folded Spill
	ds_write_b128 v167, v[48:51]
	ds_write_b128 v167, v[52:55] offset:16
	ds_write_b128 v167, v[64:67] offset:32
	ds_write_b128 v167, v[60:63] offset:48
	ds_write_b128 v167, v[56:59] offset:64
	ds_write_b128 v167, v[76:79] offset:80
	ds_write_b128 v167, v[72:75] offset:96
	ds_write_b128 v167, v[68:71] offset:112
	ds_write_b128 v167, v[44:47] offset:128
	ds_write_b128 v167, v[40:43] offset:144
	v_mul_u32_u24_e32 v40, 10, v160
	scratch_store_dword off, v40, off offset:776 ; 4-byte Folded Spill
	s_and_saveexec_b64 s[8:9], vcc
	s_cbranch_execz .LBB0_7
; %bb.6:
	v_add_f64 v[4:5], v[28:29], v[4:5]
	v_add_f64 v[0:1], v[0:1], v[8:9]
	;; [unrolled: 1-line block ×16, first 2 shown]
	v_add_f64 v[0:1], v[20:21], -v[24:25]
	v_add_f64 v[20:21], v[20:21], v[24:25]
	v_mul_u32_u24_e32 v24, 10, v160
	v_add_f64 v[2:3], v[22:23], -v[26:27]
	v_add_f64 v[22:23], v[22:23], v[26:27]
	v_lshlrev_b32_e32 v24, 4, v24
	v_add_f64 v[6:7], v[180:181], v[200:201]
	v_add_f64 v[10:11], v[184:185], v[198:199]
	;; [unrolled: 1-line block ×8, first 2 shown]
	ds_write_b128 v24, v[20:23]
	ds_write_b128 v24, v[16:19] offset:16
	ds_write_b128 v24, v[12:15] offset:32
	;; [unrolled: 1-line block ×9, first 2 shown]
.LBB0_7:
	s_or_b64 exec, exec, s[8:9]
	s_movk_i32 s10, 0xcd
	v_mul_lo_u16_sdwa v144, v210, s10 dst_sel:DWORD dst_unused:UNUSED_PAD src0_sel:BYTE_0 src1_sel:DWORD
	v_lshrrev_b16_e32 v171, 11, v144
	v_mul_lo_u16_e32 v144, 10, v171
	v_sub_u16_e32 v144, v210, v144
	s_add_u32 s8, s16, 0x8700
	v_and_b32_e32 v218, 0xff, v144
	s_movk_i32 s16, 0x50
	v_mov_b64_e32 v[172:173], s[0:1]
	v_mad_u64_u32 v[146:147], s[12:13], v218, s16, v[172:173]
	s_waitcnt lgkmcnt(0)
	; wave barrier
	s_waitcnt lgkmcnt(0)
	ds_read_b128 v[20:23], v166
	ds_read_b128 v[140:143], v166 offset:5760
	ds_read_b128 v[136:139], v166 offset:11520
	;; [unrolled: 1-line block ×35, first 2 shown]
	global_load_dwordx4 v[154:157], v[146:147], off offset:48
	global_load_dwordx4 v[176:179], v[146:147], off offset:32
	;; [unrolled: 1-line block ×3, first 2 shown]
	global_load_dwordx4 v[180:183], v[146:147], off
	v_add_u32_e32 v163, 0xf0, v210
	v_mov_b32_e32 v169, 0
	v_add_u32_e32 v161, 0x12c, v210
	v_mov_b32_e32 v230, v210
	v_accvgpr_write_b32 a0, v230
	s_addc_u32 s9, s17, 0
	s_movk_i32 s17, 0x89
	s_movk_i32 s18, 0x4000
	s_waitcnt vmcnt(3)
	scratch_store_dwordx4 off, v[154:157], off offset:536 ; 16-byte Folded Spill
	s_waitcnt vmcnt(3) lgkmcnt(14)
	v_mul_f64 v[152:153], v[132:133], v[178:179]
	s_waitcnt vmcnt(2)
	v_mul_f64 v[174:175], v[136:137], v[150:151]
	s_waitcnt vmcnt(1)
	v_mul_f64 v[144:145], v[142:143], v[182:183]
	v_fma_f64 v[144:145], v[140:141], v[180:181], -v[144:145]
	v_mul_f64 v[140:141], v[140:141], v[182:183]
	v_fmac_f64_e32 v[140:141], v[142:143], v[180:181]
	v_mul_f64 v[142:143], v[138:139], v[150:151]
	v_fma_f64 v[158:159], v[136:137], v[148:149], -v[142:143]
	v_mul_f64 v[136:137], v[134:135], v[178:179]
	scratch_store_dwordx4 off, v[148:151], off offset:568 ; 16-byte Folded Spill
	scratch_store_dwordx4 off, v[176:179], off offset:552 ; 16-byte Folded Spill
	v_fmac_f64_e32 v[152:153], v[134:135], v[176:177]
	v_fma_f64 v[150:151], v[132:133], v[176:177], -v[136:137]
	v_mul_f64 v[132:133], v[130:131], v[156:157]
	v_mul_f64 v[178:179], v[128:129], v[156:157]
	v_fma_f64 v[176:177], v[128:129], v[154:155], -v[132:133]
	v_fmac_f64_e32 v[178:179], v[130:131], v[154:155]
	global_load_dwordx4 v[130:133], v[146:147], off offset:64
	v_fmac_f64_e32 v[174:175], v[138:139], v[148:149]
	scratch_store_dwordx4 off, v[180:183], off offset:584 ; 16-byte Folded Spill
	s_waitcnt vmcnt(1)
	v_mul_f64 v[128:129], v[126:127], v[132:133]
	v_fma_f64 v[154:155], v[124:125], v[130:131], -v[128:129]
	v_mul_f64 v[156:157], v[124:125], v[132:133]
	v_mul_lo_u16_sdwa v124, v170, s10 dst_sel:DWORD dst_unused:UNUSED_PAD src0_sel:BYTE_0 src1_sel:DWORD
	v_lshrrev_b16_e32 v219, 11, v124
	v_mul_lo_u16_e32 v124, 10, v219
	v_sub_u16_e32 v124, v170, v124
	v_and_b32_e32 v220, 0xff, v124
	scratch_store_dwordx4 off, v[130:133], off offset:520 ; 16-byte Folded Spill
	v_fmac_f64_e32 v[156:157], v[126:127], v[130:131]
	v_mad_u64_u32 v[126:127], s[12:13], v220, s16, v[172:173]
	global_load_dwordx4 v[128:131], v[126:127], off offset:48
	global_load_dwordx4 v[132:135], v[126:127], off offset:32
	;; [unrolled: 1-line block ×3, first 2 shown]
	global_load_dwordx4 v[146:149], v[126:127], off
	s_waitcnt vmcnt(1)
	v_mul_f64 v[180:181], v[116:117], v[138:139]
	s_waitcnt vmcnt(0)
	v_mul_f64 v[124:125], v[122:123], v[148:149]
	v_fma_f64 v[124:125], v[120:121], v[146:147], -v[124:125]
	v_mul_f64 v[120:121], v[120:121], v[148:149]
	v_fmac_f64_e32 v[120:121], v[122:123], v[146:147]
	v_mul_f64 v[122:123], v[118:119], v[138:139]
	v_fma_f64 v[122:123], v[116:117], v[136:137], -v[122:123]
	v_mul_f64 v[116:117], v[114:115], v[134:135]
	v_fma_f64 v[116:117], v[112:113], v[132:133], -v[116:117]
	v_mul_f64 v[112:113], v[112:113], v[134:135]
	v_fmac_f64_e32 v[180:181], v[118:119], v[136:137]
	v_fmac_f64_e32 v[112:113], v[114:115], v[132:133]
	v_mul_f64 v[114:115], v[110:111], v[130:131]
	v_mul_f64 v[118:119], v[108:109], v[130:131]
	v_fma_f64 v[114:115], v[108:109], v[128:129], -v[114:115]
	scratch_store_dwordx4 off, v[128:131], off offset:616 ; 16-byte Folded Spill
	v_fmac_f64_e32 v[118:119], v[110:111], v[128:129]
	global_load_dwordx4 v[126:129], v[126:127], off offset:64
	s_waitcnt vmcnt(0)
	v_mul_f64 v[108:109], v[106:107], v[128:129]
	v_fma_f64 v[108:109], v[104:105], v[126:127], -v[108:109]
	v_mul_f64 v[110:111], v[104:105], v[128:129]
	v_mul_lo_u16_sdwa v104, v162, s10 dst_sel:DWORD dst_unused:UNUSED_PAD src0_sel:BYTE_0 src1_sel:DWORD
	v_lshrrev_b16_e32 v221, 11, v104
	v_mul_lo_u16_e32 v104, 10, v221
	v_sub_u16_e32 v104, v162, v104
	v_and_b32_e32 v222, 0xff, v104
	scratch_store_dwordx4 off, v[146:149], off offset:664 ; 16-byte Folded Spill
	scratch_store_dwordx4 off, v[136:139], off offset:648 ; 16-byte Folded Spill
	scratch_store_dwordx4 off, v[132:135], off offset:632 ; 16-byte Folded Spill
	scratch_store_dwordx4 off, v[126:129], off offset:600 ; 16-byte Folded Spill
	v_fmac_f64_e32 v[110:111], v[106:107], v[126:127]
	s_nop 0
	v_mad_u64_u32 v[126:127], s[12:13], v222, s16, v[172:173]
	global_load_dwordx4 v[128:131], v[126:127], off offset:48
	global_load_dwordx4 v[132:135], v[126:127], off offset:32
	;; [unrolled: 1-line block ×3, first 2 shown]
	global_load_dwordx4 v[146:149], v[126:127], off
	s_mov_b32 s12, 0xe8584caa
	s_mov_b32 s13, 0x3febb67a
	s_waitcnt vmcnt(3)
	v_mul_f64 v[188:189], v[88:89], v[130:131]
	s_waitcnt vmcnt(2)
	scratch_store_dwordx4 off, v[132:135], off offset:712 ; 16-byte Folded Spill
	s_waitcnt vmcnt(2)
	v_mul_f64 v[106:107], v[96:97], v[138:139]
	s_waitcnt vmcnt(1)
	v_mul_f64 v[104:105], v[102:103], v[148:149]
	v_fma_f64 v[104:105], v[100:101], v[146:147], -v[104:105]
	v_mul_f64 v[100:101], v[100:101], v[148:149]
	v_fmac_f64_e32 v[100:101], v[102:103], v[146:147]
	v_mul_f64 v[102:103], v[98:99], v[138:139]
	v_fma_f64 v[102:103], v[96:97], v[136:137], -v[102:103]
	v_mul_f64 v[96:97], v[94:95], v[134:135]
	v_fmac_f64_e32 v[106:107], v[98:99], v[136:137]
	v_fma_f64 v[98:99], v[92:93], v[132:133], -v[96:97]
	v_mul_f64 v[92:93], v[92:93], v[134:135]
	v_fmac_f64_e32 v[92:93], v[94:95], v[132:133]
	v_mul_f64 v[94:95], v[90:91], v[130:131]
	v_fma_f64 v[186:187], v[88:89], v[128:129], -v[94:95]
	global_load_dwordx4 v[94:97], v[126:127], off offset:64
	v_fmac_f64_e32 v[188:189], v[90:91], v[128:129]
	scratch_store_dwordx4 off, v[146:149], off offset:744 ; 16-byte Folded Spill
	scratch_store_dwordx4 off, v[136:139], off offset:728 ; 16-byte Folded Spill
	;; [unrolled: 1-line block ×3, first 2 shown]
	s_waitcnt vmcnt(3)
	v_mul_f64 v[88:89], v[86:87], v[96:97]
	v_fma_f64 v[88:89], v[84:85], v[94:95], -v[88:89]
	v_mul_f64 v[84:85], v[84:85], v[96:97]
	v_fmac_f64_e32 v[84:85], v[86:87], v[94:95]
	v_mul_lo_u16_sdwa v86, v160, s10 dst_sel:DWORD dst_unused:UNUSED_PAD src0_sel:BYTE_0 src1_sel:DWORD
	v_lshrrev_b16_e32 v223, 11, v86
	v_mul_lo_u16_e32 v86, 10, v223
	v_sub_u16_e32 v86, v160, v86
	v_and_b32_e32 v224, 0xff, v86
	scratch_store_dwordx4 off, v[94:97], off offset:680 ; 16-byte Folded Spill
	v_mad_u64_u32 v[126:127], s[10:11], v224, s16, v[172:173]
	global_load_dwordx4 v[128:131], v[126:127], off offset:48
	global_load_dwordx4 v[132:135], v[126:127], off offset:32
	;; [unrolled: 1-line block ×3, first 2 shown]
	global_load_dwordx4 v[146:149], v[126:127], off
	s_mov_b32 s10, 0xcccd
	s_mov_b32 s11, 0xbfebb67a
	s_waitcnt vmcnt(3) lgkmcnt(13)
	v_mul_f64 v[196:197], v[68:69], v[130:131]
	s_waitcnt vmcnt(2)
	v_mul_f64 v[90:91], v[72:73], v[134:135]
	s_waitcnt vmcnt(1)
	;; [unrolled: 2-line block ×3, first 2 shown]
	v_mul_f64 v[86:87], v[82:83], v[148:149]
	v_fma_f64 v[94:95], v[80:81], v[146:147], -v[86:87]
	v_mul_f64 v[96:97], v[80:81], v[148:149]
	v_mul_f64 v[80:81], v[78:79], v[138:139]
	v_fma_f64 v[190:191], v[76:77], v[136:137], -v[80:81]
	v_mul_f64 v[76:77], v[74:75], v[134:135]
	v_fma_f64 v[86:87], v[72:73], v[132:133], -v[76:77]
	;; [unrolled: 2-line block ×3, first 2 shown]
	v_fmac_f64_e32 v[196:197], v[70:71], v[128:129]
	global_load_dwordx4 v[70:73], v[126:127], off offset:64
	v_fmac_f64_e32 v[96:97], v[82:83], v[146:147]
	scratch_store_dwordx4 off, v[128:131], off offset:760 ; 16-byte Folded Spill
	v_fmac_f64_e32 v[192:193], v[78:79], v[136:137]
	v_fmac_f64_e32 v[90:91], v[74:75], v[132:133]
	v_accvgpr_write_b32 a215, v139
	v_accvgpr_write_b32 a211, v135
	;; [unrolled: 1-line block ×12, first 2 shown]
	s_waitcnt vmcnt(1) lgkmcnt(12)
	v_mul_f64 v[68:69], v[66:67], v[72:73]
	v_fma_f64 v[214:215], v[64:65], v[70:71], -v[68:69]
	v_mul_f64 v[216:217], v[64:65], v[72:73]
	v_mul_u32_u24_sdwa v64, v163, s10 dst_sel:DWORD dst_unused:UNUSED_PAD src0_sel:WORD_0 src1_sel:DWORD
	v_lshrrev_b32_e32 v225, 19, v64
	v_mul_lo_u16_e32 v64, 10, v225
	v_sub_u16_e32 v227, v163, v64
	v_mul_lo_u16_e32 v168, 0x50, v227
	v_accvgpr_write_b32 a223, v73
	v_lshl_add_u64 v[64:65], s[0:1], 0, v[168:169]
	v_accvgpr_write_b32 a222, v72
	v_accvgpr_write_b32 a221, v71
	;; [unrolled: 1-line block ×3, first 2 shown]
	v_fmac_f64_e32 v[216:217], v[66:67], v[70:71]
	global_load_dwordx4 v[68:71], v[64:65], off offset:48
	global_load_dwordx4 v[72:75], v[64:65], off offset:32
	;; [unrolled: 1-line block ×3, first 2 shown]
	global_load_dwordx4 v[80:83], v[64:65], off
	s_waitcnt vmcnt(3) lgkmcnt(7)
	v_mul_f64 v[212:213], v[48:49], v[70:71]
	s_waitcnt vmcnt(2)
	v_mul_f64 v[200:201], v[52:53], v[74:75]
	s_waitcnt vmcnt(1)
	;; [unrolled: 2-line block ×3, first 2 shown]
	v_mul_f64 v[66:67], v[62:63], v[82:83]
	v_fma_f64 v[182:183], v[60:61], v[80:81], -v[66:67]
	v_mul_f64 v[184:185], v[60:61], v[82:83]
	v_mul_f64 v[60:61], v[58:59], v[78:79]
	v_fma_f64 v[206:207], v[56:57], v[76:77], -v[60:61]
	v_mul_f64 v[56:57], v[54:55], v[74:75]
	v_fma_f64 v[198:199], v[52:53], v[72:73], -v[56:57]
	;; [unrolled: 2-line block ×3, first 2 shown]
	v_fmac_f64_e32 v[212:213], v[50:51], v[68:69]
	global_load_dwordx4 v[50:53], v[64:65], off offset:64
	v_fmac_f64_e32 v[184:185], v[62:63], v[80:81]
	v_fmac_f64_e32 v[208:209], v[58:59], v[76:77]
	;; [unrolled: 1-line block ×3, first 2 shown]
	v_accvgpr_write_b32 a235, v75
	v_accvgpr_write_b32 a227, v71
	;; [unrolled: 1-line block ×16, first 2 shown]
	s_waitcnt vmcnt(0) lgkmcnt(6)
	v_mul_f64 v[48:49], v[46:47], v[52:53]
	v_fma_f64 v[202:203], v[44:45], v[50:51], -v[48:49]
	v_mul_f64 v[204:205], v[44:45], v[52:53]
	v_mul_u32_u24_sdwa v44, v161, s10 dst_sel:DWORD dst_unused:UNUSED_PAD src0_sel:WORD_0 src1_sel:DWORD
	v_lshrrev_b32_e32 v226, 19, v44
	v_mul_lo_u16_e32 v44, 10, v226
	v_sub_u16_e32 v228, v161, v44
	v_mul_lo_u16_e32 v168, 0x50, v228
	v_accvgpr_write_b32 a247, v53
	v_lshl_add_u64 v[44:45], s[0:1], 0, v[168:169]
	v_accvgpr_write_b32 a246, v52
	v_accvgpr_write_b32 a245, v51
	;; [unrolled: 1-line block ×3, first 2 shown]
	v_fmac_f64_e32 v[204:205], v[46:47], v[50:51]
	global_load_dwordx4 v[48:51], v[44:45], off offset:48
	global_load_dwordx4 v[52:55], v[44:45], off offset:32
	;; [unrolled: 1-line block ×3, first 2 shown]
	global_load_dwordx4 v[60:63], v[44:45], off
	s_mov_b32 s10, s12
	s_waitcnt vmcnt(3) lgkmcnt(1)
	v_mul_f64 v[148:149], v[28:29], v[50:51]
	s_waitcnt vmcnt(2)
	v_mul_f64 v[128:129], v[32:33], v[54:55]
	s_waitcnt vmcnt(1)
	;; [unrolled: 2-line block ×3, first 2 shown]
	v_mul_f64 v[46:47], v[42:43], v[62:63]
	v_fma_f64 v[134:135], v[40:41], v[60:61], -v[46:47]
	v_mul_f64 v[136:137], v[40:41], v[62:63]
	v_mul_f64 v[40:41], v[38:39], v[58:59]
	v_fma_f64 v[138:139], v[36:37], v[56:57], -v[40:41]
	v_mul_f64 v[36:37], v[34:35], v[54:55]
	v_fma_f64 v[126:127], v[32:33], v[52:53], -v[36:37]
	;; [unrolled: 2-line block ×3, first 2 shown]
	v_fmac_f64_e32 v[148:149], v[30:31], v[48:49]
	global_load_dwordx4 v[30:33], v[44:45], off offset:64
	v_fmac_f64_e32 v[142:143], v[38:39], v[56:57]
	v_fmac_f64_e32 v[136:137], v[42:43], v[60:61]
	v_accvgpr_write_b32 a239, v55
	v_fmac_f64_e32 v[128:129], v[34:35], v[52:53]
	v_accvgpr_write_b32 a231, v51
	v_accvgpr_write_b32 a238, v54
	;; [unrolled: 1-line block ×15, first 2 shown]
	s_waitcnt lgkmcnt(0)
	; wave barrier
	s_waitcnt vmcnt(0) lgkmcnt(0)
	v_mul_f64 v[28:29], v[26:27], v[32:33]
	v_fma_f64 v[130:131], v[24:25], v[30:31], -v[28:29]
	v_mul_f64 v[132:133], v[24:25], v[32:33]
	v_add_f64 v[24:25], v[20:21], v[158:159]
	v_add_f64 v[36:37], v[24:25], v[176:177]
	;; [unrolled: 1-line block ×3, first 2 shown]
	v_fmac_f64_e32 v[20:21], -0.5, v[24:25]
	v_add_f64 v[24:25], v[174:175], -v[178:179]
	v_fma_f64 v[38:39], s[12:13], v[24:25], v[20:21]
	v_fmac_f64_e32 v[20:21], s[10:11], v[24:25]
	v_add_f64 v[24:25], v[22:23], v[174:175]
	v_add_f64 v[42:43], v[24:25], v[178:179]
	;; [unrolled: 1-line block ×3, first 2 shown]
	v_fmac_f64_e32 v[22:23], -0.5, v[24:25]
	v_add_f64 v[24:25], v[158:159], -v[176:177]
	v_fma_f64 v[44:45], s[10:11], v[24:25], v[22:23]
	v_fmac_f64_e32 v[22:23], s[12:13], v[24:25]
	v_add_f64 v[24:25], v[144:145], v[150:151]
	v_add_f64 v[40:41], v[24:25], v[154:155]
	;; [unrolled: 1-line block ×3, first 2 shown]
	v_fmac_f64_e32 v[144:145], -0.5, v[24:25]
	v_add_f64 v[24:25], v[152:153], -v[156:157]
	v_fmac_f64_e32 v[132:133], v[26:27], v[30:31]
	v_fma_f64 v[26:27], s[12:13], v[24:25], v[144:145]
	v_fmac_f64_e32 v[144:145], s[10:11], v[24:25]
	v_add_f64 v[24:25], v[140:141], v[152:153]
	v_add_f64 v[46:47], v[24:25], v[156:157]
	;; [unrolled: 1-line block ×3, first 2 shown]
	v_fmac_f64_e32 v[140:141], -0.5, v[24:25]
	v_add_f64 v[24:25], v[150:151], -v[154:155]
	v_fma_f64 v[34:35], s[10:11], v[24:25], v[140:141]
	v_mul_f64 v[48:49], v[34:35], s[12:13]
	v_mul_f64 v[52:53], v[26:27], s[10:11]
	v_fmac_f64_e32 v[48:49], 0.5, v[26:27]
	v_fmac_f64_e32 v[52:53], 0.5, v[34:35]
	v_fmac_f64_e32 v[140:141], s[12:13], v[24:25]
	v_add_f64 v[28:29], v[36:37], v[40:41]
	v_add_f64 v[24:25], v[38:39], v[48:49]
	;; [unrolled: 1-line block ×3, first 2 shown]
	v_add_f64 v[40:41], v[36:37], -v[40:41]
	v_add_f64 v[36:37], v[38:39], -v[48:49]
	;; [unrolled: 1-line block ×3, first 2 shown]
	v_add_f64 v[44:45], v[16:17], v[122:123]
	v_add_f64 v[56:57], v[44:45], v[114:115]
	v_add_f64 v[44:45], v[122:123], v[114:115]
	v_fmac_f64_e32 v[16:17], -0.5, v[44:45]
	v_add_f64 v[44:45], v[180:181], -v[118:119]
	v_fma_f64 v[58:59], s[12:13], v[44:45], v[16:17]
	v_fmac_f64_e32 v[16:17], s[10:11], v[44:45]
	v_add_f64 v[44:45], v[18:19], v[180:181]
	v_add_f64 v[62:63], v[44:45], v[118:119]
	;; [unrolled: 1-line block ×3, first 2 shown]
	v_fmac_f64_e32 v[18:19], -0.5, v[44:45]
	v_add_f64 v[44:45], v[122:123], -v[114:115]
	v_fma_f64 v[64:65], s[10:11], v[44:45], v[18:19]
	v_fmac_f64_e32 v[18:19], s[12:13], v[44:45]
	v_add_f64 v[44:45], v[124:125], v[116:117]
	v_add_f64 v[60:61], v[44:45], v[108:109]
	;; [unrolled: 1-line block ×3, first 2 shown]
	v_accvgpr_write_b32 a255, v33
	v_fmac_f64_e32 v[124:125], -0.5, v[44:45]
	v_add_f64 v[44:45], v[112:113], -v[110:111]
	v_accvgpr_write_b32 a254, v32
	v_accvgpr_write_b32 a253, v31
	;; [unrolled: 1-line block ×3, first 2 shown]
	v_add_f64 v[30:31], v[42:43], v[46:47]
	v_add_f64 v[42:43], v[42:43], -v[46:47]
	v_fma_f64 v[46:47], s[12:13], v[44:45], v[124:125]
	v_fmac_f64_e32 v[124:125], s[10:11], v[44:45]
	v_add_f64 v[44:45], v[120:121], v[112:113]
	v_mul_f64 v[54:55], v[140:141], -0.5
	v_add_f64 v[66:67], v[44:45], v[110:111]
	v_add_f64 v[44:45], v[112:113], v[110:111]
	v_fmac_f64_e32 v[54:55], s[10:11], v[144:145]
	v_fmac_f64_e32 v[120:121], -0.5, v[44:45]
	v_add_f64 v[44:45], v[116:117], -v[108:109]
	v_add_f64 v[34:35], v[22:23], v[54:55]
	v_add_f64 v[22:23], v[22:23], -v[54:55]
	v_fma_f64 v[54:55], s[10:11], v[44:45], v[120:121]
	v_mul_f64 v[68:69], v[54:55], s[12:13]
	v_mul_f64 v[72:73], v[46:47], s[10:11]
	v_fmac_f64_e32 v[68:69], 0.5, v[46:47]
	v_fmac_f64_e32 v[72:73], 0.5, v[54:55]
	v_fmac_f64_e32 v[120:121], s[12:13], v[44:45]
	v_add_f64 v[48:49], v[56:57], v[60:61]
	v_add_f64 v[44:45], v[58:59], v[68:69]
	;; [unrolled: 1-line block ×3, first 2 shown]
	v_add_f64 v[60:61], v[56:57], -v[60:61]
	v_add_f64 v[56:57], v[58:59], -v[68:69]
	;; [unrolled: 1-line block ×3, first 2 shown]
	v_add_f64 v[64:65], v[12:13], v[102:103]
	v_add_f64 v[76:77], v[64:65], v[186:187]
	;; [unrolled: 1-line block ×3, first 2 shown]
	v_fmac_f64_e32 v[12:13], -0.5, v[64:65]
	v_add_f64 v[64:65], v[106:107], -v[188:189]
	v_fma_f64 v[78:79], s[12:13], v[64:65], v[12:13]
	v_fmac_f64_e32 v[12:13], s[10:11], v[64:65]
	v_add_f64 v[64:65], v[14:15], v[106:107]
	v_add_f64 v[82:83], v[64:65], v[188:189]
	;; [unrolled: 1-line block ×3, first 2 shown]
	v_fmac_f64_e32 v[14:15], -0.5, v[64:65]
	v_add_f64 v[64:65], v[102:103], -v[186:187]
	v_fma_f64 v[102:103], s[10:11], v[64:65], v[14:15]
	v_fmac_f64_e32 v[14:15], s[12:13], v[64:65]
	v_add_f64 v[64:65], v[104:105], v[98:99]
	v_mul_f64 v[50:51], v[144:145], -0.5
	v_add_f64 v[80:81], v[64:65], v[88:89]
	v_add_f64 v[64:65], v[98:99], v[88:89]
	v_fmac_f64_e32 v[50:51], s[12:13], v[140:141]
	v_fmac_f64_e32 v[104:105], -0.5, v[64:65]
	v_add_f64 v[64:65], v[92:93], -v[84:85]
	v_add_f64 v[32:33], v[20:21], v[50:51]
	v_add_f64 v[20:21], v[20:21], -v[50:51]
	v_add_f64 v[50:51], v[62:63], v[66:67]
	v_add_f64 v[62:63], v[62:63], -v[66:67]
	v_fma_f64 v[66:67], s[12:13], v[64:65], v[104:105]
	v_fmac_f64_e32 v[104:105], s[10:11], v[64:65]
	v_add_f64 v[64:65], v[100:101], v[92:93]
	v_mul_f64 v[74:75], v[120:121], -0.5
	v_add_f64 v[106:107], v[64:65], v[84:85]
	v_add_f64 v[64:65], v[92:93], v[84:85]
	v_fmac_f64_e32 v[74:75], s[10:11], v[124:125]
	v_fmac_f64_e32 v[100:101], -0.5, v[64:65]
	v_add_f64 v[64:65], v[98:99], -v[88:89]
	v_add_f64 v[54:55], v[18:19], v[74:75]
	v_add_f64 v[18:19], v[18:19], -v[74:75]
	v_fma_f64 v[74:75], s[10:11], v[64:65], v[100:101]
	v_fmac_f64_e32 v[100:101], s[12:13], v[64:65]
	v_mul_f64 v[84:85], v[74:75], s[12:13]
	v_fmac_f64_e32 v[84:85], 0.5, v[66:67]
	v_mul_f64 v[98:99], v[100:101], -0.5
	v_add_f64 v[68:69], v[76:77], v[80:81]
	v_add_f64 v[64:65], v[78:79], v[84:85]
	v_mul_f64 v[92:93], v[66:67], s[10:11]
	v_fmac_f64_e32 v[98:99], s[10:11], v[104:105]
	v_add_f64 v[80:81], v[76:77], -v[80:81]
	v_add_f64 v[76:77], v[78:79], -v[84:85]
	v_add_f64 v[84:85], v[8:9], v[190:191]
	v_fmac_f64_e32 v[92:93], 0.5, v[74:75]
	v_add_f64 v[74:75], v[14:15], v[98:99]
	v_add_f64 v[14:15], v[14:15], -v[98:99]
	v_add_f64 v[98:99], v[84:85], v[194:195]
	v_add_f64 v[84:85], v[190:191], v[194:195]
	v_fmac_f64_e32 v[8:9], -0.5, v[84:85]
	v_add_f64 v[84:85], v[192:193], -v[196:197]
	v_add_f64 v[66:67], v[102:103], v[92:93]
	v_add_f64 v[78:79], v[102:103], -v[92:93]
	v_fma_f64 v[102:103], s[12:13], v[84:85], v[8:9]
	v_fmac_f64_e32 v[8:9], s[10:11], v[84:85]
	v_add_f64 v[84:85], v[10:11], v[192:193]
	v_mul_f64 v[70:71], v[124:125], -0.5
	v_mul_f64 v[88:89], v[104:105], -0.5
	v_add_f64 v[104:105], v[84:85], v[196:197]
	v_add_f64 v[84:85], v[192:193], v[196:197]
	v_fmac_f64_e32 v[70:71], s[12:13], v[120:121]
	v_fmac_f64_e32 v[10:11], -0.5, v[84:85]
	v_add_f64 v[84:85], v[190:191], -v[194:195]
	v_add_f64 v[52:53], v[16:17], v[70:71]
	v_add_f64 v[16:17], v[16:17], -v[70:71]
	v_add_f64 v[70:71], v[82:83], v[106:107]
	v_add_f64 v[82:83], v[82:83], -v[106:107]
	v_fma_f64 v[106:107], s[10:11], v[84:85], v[10:11]
	v_fmac_f64_e32 v[10:11], s[12:13], v[84:85]
	v_add_f64 v[84:85], v[94:95], v[86:87]
	v_fmac_f64_e32 v[88:89], s[12:13], v[100:101]
	v_add_f64 v[100:101], v[84:85], v[214:215]
	v_add_f64 v[84:85], v[86:87], v[214:215]
	v_fmac_f64_e32 v[94:95], -0.5, v[84:85]
	v_add_f64 v[84:85], v[90:91], -v[216:217]
	v_fma_f64 v[108:109], s[12:13], v[84:85], v[94:95]
	v_fmac_f64_e32 v[94:95], s[10:11], v[84:85]
	v_add_f64 v[84:85], v[96:97], v[90:91]
	v_add_f64 v[110:111], v[84:85], v[216:217]
	;; [unrolled: 1-line block ×3, first 2 shown]
	v_fmac_f64_e32 v[96:97], -0.5, v[84:85]
	v_add_f64 v[84:85], v[86:87], -v[214:215]
	v_fma_f64 v[86:87], s[10:11], v[84:85], v[96:97]
	v_fmac_f64_e32 v[96:97], s[12:13], v[84:85]
	v_mul_f64 v[112:113], v[86:87], s[12:13]
	v_fmac_f64_e32 v[112:113], 0.5, v[108:109]
	v_mul_f64 v[114:115], v[94:95], -0.5
	v_mul_f64 v[116:117], v[96:97], -0.5
	v_add_f64 v[84:85], v[102:103], v[112:113]
	v_fmac_f64_e32 v[114:115], s[12:13], v[96:97]
	v_add_f64 v[90:91], v[104:105], v[110:111]
	v_fmac_f64_e32 v[116:117], s[10:11], v[94:95]
	v_add_f64 v[96:97], v[102:103], -v[112:113]
	v_add_f64 v[102:103], v[104:105], -v[110:111]
	v_add_f64 v[104:105], v[4:5], v[206:207]
	v_add_f64 v[94:95], v[10:11], v[116:117]
	v_add_f64 v[10:11], v[10:11], -v[116:117]
	v_add_f64 v[116:117], v[104:105], v[210:211]
	v_add_f64 v[104:105], v[206:207], v[210:211]
	v_fmac_f64_e32 v[4:5], -0.5, v[104:105]
	v_add_f64 v[104:105], v[208:209], -v[212:213]
	v_fma_f64 v[118:119], s[12:13], v[104:105], v[4:5]
	v_fmac_f64_e32 v[4:5], s[10:11], v[104:105]
	v_add_f64 v[104:105], v[6:7], v[208:209]
	v_add_f64 v[122:123], v[104:105], v[212:213]
	;; [unrolled: 1-line block ×3, first 2 shown]
	v_fmac_f64_e32 v[6:7], -0.5, v[104:105]
	v_add_f64 v[104:105], v[206:207], -v[210:211]
	v_fma_f64 v[124:125], s[10:11], v[104:105], v[6:7]
	v_fmac_f64_e32 v[6:7], s[12:13], v[104:105]
	v_add_f64 v[104:105], v[182:183], v[198:199]
	v_mul_f64 v[108:109], v[108:109], s[10:11]
	v_add_f64 v[120:121], v[104:105], v[202:203]
	v_add_f64 v[104:105], v[198:199], v[202:203]
	v_fmac_f64_e32 v[108:109], 0.5, v[86:87]
	v_fmac_f64_e32 v[182:183], -0.5, v[104:105]
	v_add_f64 v[104:105], v[200:201], -v[204:205]
	v_add_f64 v[72:73], v[12:13], v[88:89]
	v_add_f64 v[12:13], v[12:13], -v[88:89]
	v_add_f64 v[88:89], v[98:99], v[100:101]
	v_add_f64 v[86:87], v[106:107], v[108:109]
	v_add_f64 v[100:101], v[98:99], -v[100:101]
	v_add_f64 v[98:99], v[106:107], -v[108:109]
	v_fma_f64 v[106:107], s[12:13], v[104:105], v[182:183]
	v_fmac_f64_e32 v[182:183], s[10:11], v[104:105]
	v_add_f64 v[104:105], v[184:185], v[200:201]
	v_add_f64 v[140:141], v[104:105], v[204:205]
	;; [unrolled: 1-line block ×3, first 2 shown]
	v_fmac_f64_e32 v[184:185], -0.5, v[104:105]
	v_add_f64 v[104:105], v[198:199], -v[202:203]
	v_add_f64 v[92:93], v[8:9], v[114:115]
	v_add_f64 v[8:9], v[8:9], -v[114:115]
	v_fma_f64 v[114:115], s[10:11], v[104:105], v[184:185]
	v_mul_f64 v[144:145], v[114:115], s[12:13]
	v_mul_f64 v[152:153], v[106:107], s[10:11]
	v_fmac_f64_e32 v[144:145], 0.5, v[106:107]
	v_fmac_f64_e32 v[152:153], 0.5, v[114:115]
	v_fmac_f64_e32 v[184:185], s[12:13], v[104:105]
	v_add_f64 v[108:109], v[116:117], v[120:121]
	v_add_f64 v[104:105], v[118:119], v[144:145]
	;; [unrolled: 1-line block ×3, first 2 shown]
	v_add_f64 v[120:121], v[116:117], -v[120:121]
	v_add_f64 v[116:117], v[118:119], -v[144:145]
	v_add_f64 v[118:119], v[124:125], -v[152:153]
	v_add_f64 v[124:125], v[0:1], v[138:139]
	v_add_f64 v[110:111], v[122:123], v[140:141]
	v_add_f64 v[122:123], v[122:123], -v[140:141]
	v_add_f64 v[140:141], v[124:125], v[146:147]
	v_add_f64 v[124:125], v[138:139], v[146:147]
	v_mul_f64 v[150:151], v[182:183], -0.5
	v_fmac_f64_e32 v[0:1], -0.5, v[124:125]
	v_add_f64 v[124:125], v[142:143], -v[148:149]
	v_fmac_f64_e32 v[150:151], s[12:13], v[184:185]
	v_fma_f64 v[144:145], s[12:13], v[124:125], v[0:1]
	v_fmac_f64_e32 v[0:1], s[10:11], v[124:125]
	v_add_f64 v[124:125], v[2:3], v[142:143]
	v_add_f64 v[112:113], v[4:5], v[150:151]
	v_add_f64 v[4:5], v[4:5], -v[150:151]
	v_add_f64 v[150:151], v[124:125], v[148:149]
	v_add_f64 v[124:125], v[142:143], v[148:149]
	v_fmac_f64_e32 v[2:3], -0.5, v[124:125]
	v_add_f64 v[124:125], v[138:139], -v[146:147]
	v_fma_f64 v[138:139], s[10:11], v[124:125], v[2:3]
	v_fmac_f64_e32 v[2:3], s[12:13], v[124:125]
	v_add_f64 v[124:125], v[134:135], v[126:127]
	v_add_f64 v[142:143], v[124:125], v[130:131]
	v_add_f64 v[124:125], v[126:127], v[130:131]
	v_fmac_f64_e32 v[134:135], -0.5, v[124:125]
	v_add_f64 v[124:125], v[128:129], -v[132:133]
	v_fma_f64 v[146:147], s[12:13], v[124:125], v[134:135]
	v_fmac_f64_e32 v[134:135], s[10:11], v[124:125]
	v_add_f64 v[124:125], v[136:137], v[128:129]
	v_add_f64 v[148:149], v[124:125], v[132:133]
	;; [unrolled: 1-line block ×3, first 2 shown]
	v_fmac_f64_e32 v[136:137], -0.5, v[124:125]
	v_add_f64 v[124:125], v[126:127], -v[130:131]
	v_mul_f64 v[154:155], v[184:185], -0.5
	v_fma_f64 v[126:127], s[10:11], v[124:125], v[136:137]
	v_fmac_f64_e32 v[154:155], s[10:11], v[182:183]
	v_mul_f64 v[152:153], v[126:127], s[12:13]
	v_add_f64 v[114:115], v[6:7], v[154:155]
	v_add_f64 v[6:7], v[6:7], -v[154:155]
	v_fmac_f64_e32 v[136:137], s[12:13], v[124:125]
	v_fmac_f64_e32 v[152:153], 0.5, v[146:147]
	v_mul_f64 v[154:155], v[134:135], -0.5
	v_add_f64 v[124:125], v[144:145], v[152:153]
	v_fmac_f64_e32 v[154:155], s[12:13], v[136:137]
	v_mul_f64 v[156:157], v[136:137], -0.5
	v_add_f64 v[136:137], v[144:145], -v[152:153]
	v_mul_u32_u24_e32 v144, 60, v171
	v_add_lshl_u32 v144, v144, v218, 4
	ds_write_b128 v144, v[28:31]
	ds_write_b128 v144, v[24:27] offset:160
	ds_write_b128 v144, v[32:35] offset:320
	ds_write_b128 v144, v[40:43] offset:480
	ds_write_b128 v144, v[36:39] offset:640
	ds_write_b128 v144, v[20:23] offset:800
	v_mul_u32_u24_e32 v20, 60, v219
	v_add_lshl_u32 v20, v20, v220, 4
	ds_write_b128 v20, v[48:51]
	ds_write_b128 v20, v[44:47] offset:160
	ds_write_b128 v20, v[52:55] offset:320
	ds_write_b128 v20, v[60:63] offset:480
	ds_write_b128 v20, v[56:59] offset:640
	ds_write_b128 v20, v[16:19] offset:800
	;; [unrolled: 8-line block ×3, first 2 shown]
	v_mul_u32_u24_e32 v12, 60, v223
	v_add_lshl_u32 v12, v12, v224, 4
	scratch_store_dword off, v16, off offset:388 ; 4-byte Folded Spill
	ds_write_b128 v12, v[88:91]
	ds_write_b128 v12, v[84:87] offset:160
	ds_write_b128 v12, v[92:95] offset:320
	;; [unrolled: 1-line block ×5, first 2 shown]
	v_mad_legacy_u16 v8, v225, 60, v227
	v_mul_f64 v[146:147], v[146:147], s[10:11]
	v_lshlrev_b32_e32 v8, 4, v8
	v_fmac_f64_e32 v[146:147], 0.5, v[126:127]
	v_fmac_f64_e32 v[156:157], s[10:11], v[134:135]
	scratch_store_dword off, v12, off offset:384 ; 4-byte Folded Spill
	ds_write_b128 v8, v[108:111]
	ds_write_b128 v8, v[104:107] offset:160
	ds_write_b128 v8, v[112:115] offset:320
	;; [unrolled: 1-line block ×5, first 2 shown]
	v_mad_legacy_u16 v4, v226, 60, v228
	v_add_f64 v[128:129], v[140:141], v[142:143]
	v_add_f64 v[132:133], v[0:1], v[154:155]
	;; [unrolled: 1-line block ×5, first 2 shown]
	v_add_f64 v[140:141], v[140:141], -v[142:143]
	v_add_f64 v[0:1], v[0:1], -v[154:155]
	;; [unrolled: 1-line block ×5, first 2 shown]
	v_lshlrev_b32_e32 v4, 4, v4
	v_mad_u64_u32 v[174:175], s[14:15], v230, s16, v[172:173]
	v_accvgpr_write_b32 a1, v144
	v_accvgpr_write_b32 a174, v20
	scratch_store_dword off, v8, off offset:380 ; 4-byte Folded Spill
	ds_write_b128 v4, v[128:131]
	ds_write_b128 v4, v[124:127] offset:160
	ds_write_b128 v4, v[132:135] offset:320
	;; [unrolled: 1-line block ×4, first 2 shown]
	scratch_store_dword off, v4, off offset:376 ; 4-byte Folded Spill
	ds_write_b128 v4, v[0:3] offset:800
	s_waitcnt lgkmcnt(0)
	; wave barrier
	s_waitcnt lgkmcnt(0)
	ds_read_b128 v[120:123], v166
	ds_read_b128 v[156:159], v166 offset:5760
	ds_read_b128 v[152:155], v166 offset:11520
	;; [unrolled: 1-line block ×35, first 2 shown]
	global_load_dwordx4 v[0:3], v[174:175], off offset:848
	global_load_dwordx4 v[4:7], v[174:175], off offset:832
	;; [unrolled: 1-line block ×4, first 2 shown]
	s_waitcnt vmcnt(3) lgkmcnt(14)
	v_mul_f64 v[226:227], v[16:17], v[2:3]
	s_waitcnt vmcnt(2)
	v_mul_f64 v[218:219], v[148:149], v[6:7]
	s_waitcnt vmcnt(1)
	;; [unrolled: 2-line block ×3, first 2 shown]
	v_mul_f64 v[176:177], v[158:159], v[14:15]
	v_fma_f64 v[190:191], v[156:157], v[12:13], -v[176:177]
	v_mul_f64 v[192:193], v[156:157], v[14:15]
	v_mul_f64 v[156:157], v[154:155], v[10:11]
	v_fma_f64 v[220:221], v[152:153], v[8:9], -v[156:157]
	v_mul_f64 v[152:153], v[150:151], v[6:7]
	v_fma_f64 v[214:215], v[148:149], v[4:5], -v[152:153]
	v_mul_f64 v[148:149], v[18:19], v[2:3]
	v_fma_f64 v[224:225], v[16:17], v[0:1], -v[148:149]
	v_fmac_f64_e32 v[226:227], v[18:19], v[0:1]
	global_load_dwordx4 v[16:19], v[174:175], off offset:864
	v_mul_f64 v[186:187], v[140:141], v[14:15]
	v_mul_f64 v[198:199], v[136:137], v[10:11]
	;; [unrolled: 1-line block ×3, first 2 shown]
	v_fmac_f64_e32 v[218:219], v[150:151], v[4:5]
	v_fmac_f64_e32 v[186:187], v[142:143], v[12:13]
	;; [unrolled: 1-line block ×6, first 2 shown]
	s_waitcnt vmcnt(0)
	v_mul_f64 v[148:149], v[146:147], v[18:19]
	v_fma_f64 v[228:229], v[144:145], v[16:17], -v[148:149]
	v_mul_f64 v[230:231], v[144:145], v[18:19]
	v_mul_f64 v[144:145], v[142:143], v[14:15]
	v_fma_f64 v[184:185], v[140:141], v[12:13], -v[144:145]
	v_mul_f64 v[140:141], v[138:139], v[10:11]
	v_fma_f64 v[196:197], v[136:137], v[8:9], -v[140:141]
	;; [unrolled: 2-line block ×3, first 2 shown]
	v_mul_f64 v[132:133], v[132:133], v[6:7]
	v_fmac_f64_e32 v[132:133], v[134:135], v[4:5]
	v_mul_f64 v[134:135], v[130:131], v[2:3]
	v_fma_f64 v[200:201], v[128:129], v[0:1], -v[134:135]
	v_mul_f64 v[128:129], v[126:127], v[18:19]
	v_fma_f64 v[134:135], v[124:125], v[16:17], -v[128:129]
	v_mul_f64 v[194:195], v[124:125], v[18:19]
	v_mul_lo_u16_sdwa v124, v162, s17 dst_sel:DWORD dst_unused:UNUSED_PAD src0_sel:BYTE_0 src1_sel:DWORD
	v_lshrrev_b16_e32 v124, 13, v124
	v_mul_lo_u16_e32 v124, 60, v124
	v_sub_u16_e32 v124, v162, v124
	v_and_b32_e32 v171, 0xff, v124
	v_mad_u64_u32 v[124:125], s[14:15], v171, s16, v[172:173]
	v_fmac_f64_e32 v[230:231], v[146:147], v[16:17]
	global_load_dwordx4 v[128:131], v[124:125], off offset:848
	global_load_dwordx4 v[140:143], v[124:125], off offset:832
	;; [unrolled: 1-line block ×4, first 2 shown]
	v_fmac_f64_e32 v[194:195], v[126:127], v[16:17]
	s_waitcnt vmcnt(3)
	v_mul_f64 v[216:217], v[84:85], v[130:131]
	v_accvgpr_write_b32 a6, v128
	s_waitcnt vmcnt(1)
	v_mul_f64 v[210:211], v[92:93], v[146:147]
	s_waitcnt vmcnt(0)
	v_mul_f64 v[126:127], v[98:99], v[150:151]
	v_fma_f64 v[138:139], v[96:97], v[148:149], -v[126:127]
	v_mul_f64 v[188:189], v[96:97], v[150:151]
	v_mul_f64 v[96:97], v[94:95], v[146:147]
	v_fma_f64 v[208:209], v[92:93], v[144:145], -v[96:97]
	v_mul_f64 v[92:93], v[90:91], v[142:143]
	v_fmac_f64_e32 v[210:211], v[94:95], v[144:145]
	v_fma_f64 v[202:203], v[88:89], v[140:141], -v[92:93]
	global_load_dwordx4 v[92:95], v[124:125], off offset:864
	v_mul_f64 v[88:89], v[88:89], v[142:143]
	v_fmac_f64_e32 v[88:89], v[90:91], v[140:141]
	v_mul_f64 v[90:91], v[86:87], v[130:131]
	v_fma_f64 v[212:213], v[84:85], v[128:129], -v[90:91]
	v_accvgpr_write_b32 a7, v129
	v_accvgpr_write_b32 a8, v130
	;; [unrolled: 1-line block ×3, first 2 shown]
	v_fmac_f64_e32 v[216:217], v[86:87], v[128:129]
	v_fmac_f64_e32 v[188:189], v[98:99], v[148:149]
	v_accvgpr_write_b32 a26, v140
	v_accvgpr_write_b32 a27, v141
	;; [unrolled: 1-line block ×12, first 2 shown]
	s_waitcnt vmcnt(0)
	v_mul_f64 v[84:85], v[82:83], v[94:95]
	v_fma_f64 v[90:91], v[80:81], v[92:93], -v[84:85]
	v_mul_f64 v[206:207], v[80:81], v[94:95]
	v_mul_lo_u16_sdwa v80, v160, s17 dst_sel:DWORD dst_unused:UNUSED_PAD src0_sel:BYTE_0 src1_sel:DWORD
	v_lshrrev_b16_e32 v80, 13, v80
	v_mul_lo_u16_e32 v80, 60, v80
	v_sub_u16_e32 v80, v160, v80
	v_accvgpr_write_b32 a115, v95
	v_and_b32_e32 v232, 0xff, v80
	v_accvgpr_write_b32 a114, v94
	v_accvgpr_write_b32 a113, v93
	;; [unrolled: 1-line block ×3, first 2 shown]
	v_fmac_f64_e32 v[206:207], v[82:83], v[92:93]
	v_mad_u64_u32 v[92:93], s[14:15], v232, s16, v[172:173]
	global_load_dwordx4 v[94:97], v[92:93], off offset:848
	global_load_dwordx4 v[84:87], v[92:93], off offset:832
	;; [unrolled: 1-line block ×4, first 2 shown]
	s_mov_b32 s14, 0x8889
	s_movk_i32 s17, 0x1000
	s_waitcnt vmcnt(3)
	v_accvgpr_write_b32 a14, v94
	s_waitcnt vmcnt(2)
	v_accvgpr_write_b32 a38, v84
	v_accvgpr_write_b32 a39, v85
	s_waitcnt vmcnt(0)
	v_mul_f64 v[80:81], v[78:79], v[130:131]
	v_fma_f64 v[80:81], v[76:77], v[128:129], -v[80:81]
	v_mul_f64 v[82:83], v[76:77], v[130:131]
	v_mul_f64 v[76:77], v[74:75], v[126:127]
	v_fmac_f64_e32 v[82:83], v[78:79], v[128:129]
	v_fma_f64 v[76:77], v[72:73], v[124:125], -v[76:77]
	v_mul_f64 v[78:79], v[72:73], v[126:127]
	v_mul_f64 v[72:73], v[70:71], v[86:87]
	v_fma_f64 v[72:73], v[68:69], v[84:85], -v[72:73]
	v_mul_f64 v[68:69], v[68:69], v[86:87]
	v_accvgpr_write_b32 a40, v86
	v_accvgpr_write_b32 a41, v87
	v_fmac_f64_e32 v[68:69], v[70:71], v[84:85]
	s_waitcnt lgkmcnt(13)
	v_mul_f64 v[70:71], v[66:67], v[96:97]
	v_mul_f64 v[86:87], v[64:65], v[96:97]
	v_fma_f64 v[84:85], v[64:65], v[94:95], -v[70:71]
	v_accvgpr_write_b32 a15, v95
	v_accvgpr_write_b32 a16, v96
	v_accvgpr_write_b32 a17, v97
	v_fmac_f64_e32 v[86:87], v[66:67], v[94:95]
	global_load_dwordx4 v[92:95], v[92:93], off offset:864
	v_fmac_f64_e32 v[78:79], v[74:75], v[124:125]
	v_accvgpr_write_b32 a104, v124
	v_accvgpr_write_b32 a105, v125
	;; [unrolled: 1-line block ×8, first 2 shown]
	s_waitcnt vmcnt(0) lgkmcnt(12)
	v_mul_f64 v[64:65], v[62:63], v[94:95]
	v_fma_f64 v[70:71], v[60:61], v[92:93], -v[64:65]
	v_mul_f64 v[74:75], v[60:61], v[94:95]
	v_mul_u32_u24_sdwa v60, v163, s14 dst_sel:DWORD dst_unused:UNUSED_PAD src0_sel:WORD_0 src1_sel:DWORD
	v_lshrrev_b32_e32 v60, 21, v60
	v_mul_lo_u16_e32 v60, 60, v60
	v_sub_u16_e32 v233, v163, v60
	v_mul_lo_u16_e32 v168, 0x50, v233
	v_accvgpr_write_b32 a58, v92
	v_lshl_add_u64 v[60:61], s[0:1], 0, v[168:169]
	v_accvgpr_write_b32 a59, v93
	v_accvgpr_write_b32 a60, v94
	;; [unrolled: 1-line block ×3, first 2 shown]
	v_fmac_f64_e32 v[74:75], v[62:63], v[92:93]
	global_load_dwordx4 v[64:67], v[60:61], off offset:848
	global_load_dwordx4 v[96:99], v[60:61], off offset:832
	;; [unrolled: 1-line block ×4, first 2 shown]
	s_waitcnt vmcnt(3) lgkmcnt(7)
	v_mul_f64 v[182:183], v[44:45], v[66:67]
	v_fmac_f64_e32 v[182:183], v[46:47], v[64:65]
	s_waitcnt vmcnt(1)
	v_mul_f64 v[178:179], v[52:53], v[94:95]
	s_waitcnt vmcnt(0)
	v_mul_f64 v[62:63], v[58:59], v[126:127]
	v_fma_f64 v[140:141], v[56:57], v[124:125], -v[62:63]
	v_mul_f64 v[142:143], v[56:57], v[126:127]
	v_mul_f64 v[56:57], v[54:55], v[94:95]
	v_fma_f64 v[176:177], v[52:53], v[92:93], -v[56:57]
	v_accvgpr_write_b32 a78, v92
	v_mul_f64 v[52:53], v[50:51], v[98:99]
	v_accvgpr_write_b32 a79, v93
	v_accvgpr_write_b32 a80, v94
	;; [unrolled: 1-line block ×3, first 2 shown]
	v_fmac_f64_e32 v[178:179], v[54:55], v[92:93]
	v_fma_f64 v[92:93], v[48:49], v[96:97], -v[52:53]
	v_mul_f64 v[94:95], v[48:49], v[98:99]
	v_mul_f64 v[48:49], v[46:47], v[66:67]
	v_fma_f64 v[180:181], v[44:45], v[64:65], -v[48:49]
	global_load_dwordx4 v[46:49], v[60:61], off offset:864
	v_accvgpr_write_b32 a103, v99
	v_accvgpr_write_b32 a102, v98
	;; [unrolled: 1-line block ×4, first 2 shown]
	v_fmac_f64_e32 v[94:95], v[50:51], v[96:97]
	v_fmac_f64_e32 v[142:143], v[58:59], v[124:125]
	v_accvgpr_write_b32 a54, v124
	v_accvgpr_write_b32 a55, v125
	;; [unrolled: 1-line block ×8, first 2 shown]
	v_add_f64 v[64:65], v[202:203], v[90:91]
	s_waitcnt vmcnt(0) lgkmcnt(6)
	v_mul_f64 v[44:45], v[42:43], v[48:49]
	v_fma_f64 v[96:97], v[40:41], v[46:47], -v[44:45]
	v_mul_f64 v[98:99], v[40:41], v[48:49]
	v_mul_u32_u24_sdwa v40, v161, s14 dst_sel:DWORD dst_unused:UNUSED_PAD src0_sel:WORD_0 src1_sel:DWORD
	v_lshrrev_b32_e32 v40, 21, v40
	v_mul_lo_u16_e32 v40, 60, v40
	v_sub_u16_e32 v234, v161, v40
	v_mul_lo_u16_e32 v168, 0x50, v234
	v_accvgpr_write_b32 a42, v46
	v_lshl_add_u64 v[40:41], s[0:1], 0, v[168:169]
	v_accvgpr_write_b32 a43, v47
	v_accvgpr_write_b32 a44, v48
	;; [unrolled: 1-line block ×3, first 2 shown]
	v_fmac_f64_e32 v[98:99], v[42:43], v[46:47]
	global_load_dwordx4 v[44:47], v[40:41], off offset:848
	global_load_dwordx4 v[48:51], v[40:41], off offset:832
	;; [unrolled: 1-line block ×4, first 2 shown]
	s_mov_b64 s[14:15], 0x15e0
	s_waitcnt vmcnt(3) lgkmcnt(1)
	v_mul_f64 v[162:163], v[24:25], v[46:47]
	s_waitcnt vmcnt(2)
	v_mul_f64 v[146:147], v[28:29], v[50:51]
	s_waitcnt vmcnt(1)
	;; [unrolled: 2-line block ×3, first 2 shown]
	v_mul_f64 v[42:43], v[38:39], v[58:59]
	v_fma_f64 v[154:155], v[36:37], v[56:57], -v[42:43]
	v_mul_f64 v[156:157], v[36:37], v[58:59]
	v_mul_f64 v[36:37], v[34:35], v[54:55]
	v_fma_f64 v[152:153], v[32:33], v[52:53], -v[36:37]
	v_mul_f64 v[32:33], v[30:31], v[50:51]
	v_fma_f64 v[144:145], v[28:29], v[48:49], -v[32:33]
	;; [unrolled: 2-line block ×3, first 2 shown]
	v_fmac_f64_e32 v[162:163], v[26:27], v[44:45]
	global_load_dwordx4 v[26:29], v[40:41], off offset:864
	v_fmac_f64_e32 v[158:159], v[34:35], v[52:53]
	v_fmac_f64_e32 v[156:157], v[38:39], v[56:57]
	;; [unrolled: 1-line block ×3, first 2 shown]
	v_accvgpr_write_b32 a85, v47
	v_accvgpr_write_b32 a84, v46
	;; [unrolled: 1-line block ×16, first 2 shown]
	s_waitcnt lgkmcnt(0)
	; wave barrier
	s_waitcnt vmcnt(0) lgkmcnt(0)
	v_mul_f64 v[24:25], v[22:23], v[28:29]
	v_fma_f64 v[148:149], v[20:21], v[26:27], -v[24:25]
	v_mul_f64 v[150:151], v[20:21], v[28:29]
	v_add_f64 v[20:21], v[120:121], v[220:221]
	v_add_f64 v[32:33], v[20:21], v[224:225]
	;; [unrolled: 1-line block ×3, first 2 shown]
	v_fmac_f64_e32 v[120:121], -0.5, v[20:21]
	v_add_f64 v[20:21], v[222:223], -v[226:227]
	v_fma_f64 v[34:35], s[12:13], v[20:21], v[120:121]
	v_fmac_f64_e32 v[120:121], s[10:11], v[20:21]
	v_add_f64 v[20:21], v[122:123], v[222:223]
	v_add_f64 v[36:37], v[20:21], v[226:227]
	;; [unrolled: 1-line block ×3, first 2 shown]
	v_fmac_f64_e32 v[122:123], -0.5, v[20:21]
	v_add_f64 v[20:21], v[220:221], -v[224:225]
	v_fma_f64 v[38:39], s[10:11], v[20:21], v[122:123]
	v_fmac_f64_e32 v[122:123], s[12:13], v[20:21]
	v_add_f64 v[20:21], v[190:191], v[214:215]
	v_add_f64 v[40:41], v[20:21], v[228:229]
	;; [unrolled: 1-line block ×3, first 2 shown]
	v_fmac_f64_e32 v[190:191], -0.5, v[20:21]
	v_add_f64 v[20:21], v[218:219], -v[230:231]
	v_fmac_f64_e32 v[150:151], v[22:23], v[26:27]
	v_fma_f64 v[22:23], s[12:13], v[20:21], v[190:191]
	v_fmac_f64_e32 v[190:191], s[10:11], v[20:21]
	v_add_f64 v[20:21], v[192:193], v[218:219]
	v_add_f64 v[42:43], v[20:21], v[230:231]
	v_add_f64 v[20:21], v[218:219], v[230:231]
	v_fmac_f64_e32 v[192:193], -0.5, v[20:21]
	v_add_f64 v[20:21], v[214:215], -v[228:229]
	v_fma_f64 v[30:31], s[10:11], v[20:21], v[192:193]
	v_mul_f64 v[44:45], v[30:31], s[12:13]
	v_add_f64 v[24:25], v[32:33], v[40:41]
	v_fmac_f64_e32 v[44:45], 0.5, v[22:23]
	v_add_f64 v[128:129], v[32:33], -v[40:41]
	v_add_f64 v[32:33], v[116:117], v[196:197]
	v_fmac_f64_e32 v[192:193], s[12:13], v[20:21]
	v_add_f64 v[20:21], v[34:35], v[44:45]
	v_mul_f64 v[46:47], v[190:191], -0.5
	v_add_f64 v[124:125], v[34:35], -v[44:45]
	v_add_f64 v[44:45], v[32:33], v[200:201]
	v_add_f64 v[32:33], v[196:197], v[200:201]
	v_accvgpr_write_b32 a37, v29
	v_fmac_f64_e32 v[46:47], s[12:13], v[192:193]
	v_mul_f64 v[50:51], v[192:193], -0.5
	v_fmac_f64_e32 v[116:117], -0.5, v[32:33]
	v_add_f64 v[32:33], v[198:199], -v[204:205]
	v_accvgpr_write_b32 a36, v28
	v_accvgpr_write_b32 a35, v27
	;; [unrolled: 1-line block ×3, first 2 shown]
	v_add_f64 v[28:29], v[120:121], v[46:47]
	v_mul_f64 v[48:49], v[22:23], s[10:11]
	v_fmac_f64_e32 v[50:51], s[10:11], v[190:191]
	v_add_f64 v[120:121], v[120:121], -v[46:47]
	v_fma_f64 v[46:47], s[12:13], v[32:33], v[116:117]
	v_fmac_f64_e32 v[116:117], s[10:11], v[32:33]
	v_add_f64 v[32:33], v[118:119], v[198:199]
	v_fmac_f64_e32 v[48:49], 0.5, v[30:31]
	v_add_f64 v[30:31], v[122:123], v[50:51]
	v_add_f64 v[122:123], v[122:123], -v[50:51]
	v_add_f64 v[50:51], v[32:33], v[204:205]
	v_add_f64 v[32:33], v[198:199], v[204:205]
	v_fmac_f64_e32 v[118:119], -0.5, v[32:33]
	v_add_f64 v[32:33], v[196:197], -v[200:201]
	v_fma_f64 v[54:55], s[10:11], v[32:33], v[118:119]
	v_fmac_f64_e32 v[118:119], s[12:13], v[32:33]
	v_add_f64 v[32:33], v[184:185], v[136:137]
	v_add_f64 v[22:23], v[38:39], v[48:49]
	v_add_f64 v[126:127], v[38:39], -v[48:49]
	v_add_f64 v[48:49], v[32:33], v[134:135]
	v_add_f64 v[32:33], v[136:137], v[134:135]
	v_fmac_f64_e32 v[184:185], -0.5, v[32:33]
	v_add_f64 v[32:33], v[132:133], -v[194:195]
	v_fma_f64 v[34:35], s[12:13], v[32:33], v[184:185]
	v_fmac_f64_e32 v[184:185], s[10:11], v[32:33]
	v_add_f64 v[32:33], v[186:187], v[132:133]
	v_add_f64 v[56:57], v[32:33], v[194:195]
	;; [unrolled: 1-line block ×3, first 2 shown]
	v_fmac_f64_e32 v[186:187], -0.5, v[32:33]
	v_add_f64 v[32:33], v[136:137], -v[134:135]
	v_add_f64 v[26:27], v[36:37], v[42:43]
	v_add_f64 v[130:131], v[36:37], -v[42:43]
	v_fma_f64 v[42:43], s[10:11], v[32:33], v[186:187]
	v_fmac_f64_e32 v[186:187], s[12:13], v[32:33]
	v_mul_f64 v[52:53], v[42:43], s[12:13]
	v_mul_f64 v[58:59], v[184:185], -0.5
	v_fmac_f64_e32 v[52:53], 0.5, v[34:35]
	v_fmac_f64_e32 v[58:59], s[12:13], v[186:187]
	v_mul_f64 v[60:61], v[34:35], s[10:11]
	v_add_f64 v[36:37], v[44:45], v[48:49]
	v_add_f64 v[32:33], v[46:47], v[52:53]
	;; [unrolled: 1-line block ×3, first 2 shown]
	v_fmac_f64_e32 v[60:61], 0.5, v[42:43]
	v_mul_f64 v[62:63], v[186:187], -0.5
	v_add_f64 v[48:49], v[44:45], -v[48:49]
	v_add_f64 v[44:45], v[46:47], -v[52:53]
	;; [unrolled: 1-line block ×3, first 2 shown]
	v_add_f64 v[58:59], v[208:209], v[212:213]
	v_add_f64 v[38:39], v[50:51], v[56:57]
	;; [unrolled: 1-line block ×3, first 2 shown]
	v_fmac_f64_e32 v[62:63], s[10:11], v[184:185]
	v_add_f64 v[50:51], v[50:51], -v[56:57]
	v_add_f64 v[46:47], v[54:55], -v[60:61]
	v_add_f64 v[56:57], v[112:113], v[208:209]
	v_fmac_f64_e32 v[112:113], -0.5, v[58:59]
	v_add_f64 v[58:59], v[210:211], -v[216:217]
	v_add_f64 v[60:61], v[210:211], v[216:217]
	v_add_f64 v[42:43], v[118:119], v[62:63]
	v_add_f64 v[54:55], v[118:119], -v[62:63]
	v_fma_f64 v[62:63], s[12:13], v[58:59], v[112:113]
	v_fmac_f64_e32 v[112:113], s[10:11], v[58:59]
	v_add_f64 v[58:59], v[114:115], v[210:211]
	v_fmac_f64_e32 v[114:115], -0.5, v[60:61]
	v_add_f64 v[60:61], v[208:209], -v[212:213]
	v_fma_f64 v[66:67], s[10:11], v[60:61], v[114:115]
	v_fmac_f64_e32 v[114:115], s[12:13], v[60:61]
	v_add_f64 v[60:61], v[138:139], v[202:203]
	v_fmac_f64_e32 v[138:139], -0.5, v[64:65]
	v_add_f64 v[64:65], v[88:89], -v[206:207]
	v_fma_f64 v[118:119], s[12:13], v[64:65], v[138:139]
	v_fmac_f64_e32 v[138:139], s[10:11], v[64:65]
	v_add_f64 v[64:65], v[188:189], v[88:89]
	v_add_f64 v[184:185], v[64:65], v[206:207]
	v_add_f64 v[64:65], v[88:89], v[206:207]
	v_fmac_f64_e32 v[188:189], -0.5, v[64:65]
	v_add_f64 v[64:65], v[202:203], -v[90:91]
	v_fma_f64 v[88:89], s[10:11], v[64:65], v[188:189]
	v_add_f64 v[60:61], v[60:61], v[90:91]
	v_fmac_f64_e32 v[188:189], s[12:13], v[64:65]
	v_mul_f64 v[64:65], v[88:89], s[12:13]
	v_mul_f64 v[90:91], v[138:139], -0.5
	v_mul_f64 v[186:187], v[118:119], s[10:11]
	v_add_f64 v[56:57], v[56:57], v[212:213]
	v_fmac_f64_e32 v[64:65], 0.5, v[118:119]
	v_fmac_f64_e32 v[90:91], s[12:13], v[188:189]
	v_fmac_f64_e32 v[186:187], 0.5, v[88:89]
	v_mul_f64 v[88:89], v[188:189], -0.5
	v_add_f64 v[58:59], v[58:59], v[216:217]
	v_add_f64 v[132:133], v[56:57], v[60:61]
	v_add_f64 v[116:117], v[62:63], v[64:65]
	v_add_f64 v[136:137], v[112:113], v[90:91]
	v_fmac_f64_e32 v[88:89], s[10:11], v[138:139]
	v_add_f64 v[60:61], v[56:57], -v[60:61]
	v_add_f64 v[56:57], v[62:63], -v[64:65]
	;; [unrolled: 1-line block ×3, first 2 shown]
	v_add_f64 v[90:91], v[76:77], v[84:85]
	v_add_f64 v[134:135], v[58:59], v[184:185]
	;; [unrolled: 1-line block ×4, first 2 shown]
	v_add_f64 v[62:63], v[58:59], -v[184:185]
	v_add_f64 v[58:59], v[66:67], -v[186:187]
	;; [unrolled: 1-line block ×3, first 2 shown]
	v_add_f64 v[88:89], v[108:109], v[76:77]
	v_fmac_f64_e32 v[108:109], -0.5, v[90:91]
	v_add_f64 v[90:91], v[78:79], -v[86:87]
	v_fma_f64 v[112:113], s[12:13], v[90:91], v[108:109]
	v_fmac_f64_e32 v[108:109], s[10:11], v[90:91]
	v_add_f64 v[90:91], v[110:111], v[78:79]
	v_add_f64 v[78:79], v[78:79], v[86:87]
	v_fmac_f64_e32 v[110:111], -0.5, v[78:79]
	v_add_f64 v[76:77], v[76:77], -v[84:85]
	v_fma_f64 v[114:115], s[10:11], v[76:77], v[110:111]
	v_fmac_f64_e32 v[110:111], s[12:13], v[76:77]
	v_add_f64 v[76:77], v[80:81], v[72:73]
	v_add_f64 v[88:89], v[88:89], v[84:85]
	;; [unrolled: 1-line block ×4, first 2 shown]
	v_fmac_f64_e32 v[80:81], -0.5, v[76:77]
	v_add_f64 v[76:77], v[68:69], -v[74:75]
	v_fma_f64 v[78:79], s[12:13], v[76:77], v[80:81]
	v_fmac_f64_e32 v[80:81], s[10:11], v[76:77]
	v_add_f64 v[76:77], v[82:83], v[68:69]
	v_add_f64 v[68:69], v[68:69], v[74:75]
	v_fmac_f64_e32 v[82:83], -0.5, v[68:69]
	v_add_f64 v[68:69], v[72:73], -v[70:71]
	v_fma_f64 v[70:71], s[10:11], v[68:69], v[82:83]
	v_fmac_f64_e32 v[82:83], s[12:13], v[68:69]
	v_mul_f64 v[186:187], v[80:81], -0.5
	v_mul_f64 v[184:185], v[70:71], s[12:13]
	v_fmac_f64_e32 v[186:187], s[12:13], v[82:83]
	v_add_f64 v[90:91], v[90:91], v[86:87]
	v_add_f64 v[86:87], v[76:77], v[74:75]
	;; [unrolled: 1-line block ×3, first 2 shown]
	v_fmac_f64_e32 v[184:185], 0.5, v[78:79]
	v_add_f64 v[76:77], v[108:109], v[186:187]
	v_mul_f64 v[190:191], v[82:83], -0.5
	v_add_f64 v[84:85], v[88:89], -v[84:85]
	v_add_f64 v[88:89], v[108:109], -v[186:187]
	v_add_f64 v[108:109], v[104:105], v[176:177]
	v_add_f64 v[68:69], v[112:113], v[184:185]
	v_mul_f64 v[188:189], v[78:79], s[10:11]
	v_fmac_f64_e32 v[190:191], s[10:11], v[80:81]
	v_add_f64 v[80:81], v[112:113], -v[184:185]
	v_add_f64 v[112:113], v[108:109], v[180:181]
	v_add_f64 v[108:109], v[176:177], v[180:181]
	v_fmac_f64_e32 v[188:189], 0.5, v[70:71]
	v_fmac_f64_e32 v[104:105], -0.5, v[108:109]
	v_add_f64 v[108:109], v[178:179], -v[182:183]
	v_add_f64 v[70:71], v[114:115], v[188:189]
	v_add_f64 v[82:83], v[114:115], -v[188:189]
	v_fma_f64 v[114:115], s[12:13], v[108:109], v[104:105]
	v_fmac_f64_e32 v[104:105], s[10:11], v[108:109]
	v_add_f64 v[108:109], v[106:107], v[178:179]
	v_add_f64 v[184:185], v[108:109], v[182:183]
	;; [unrolled: 1-line block ×3, first 2 shown]
	v_fmac_f64_e32 v[106:107], -0.5, v[108:109]
	v_add_f64 v[108:109], v[176:177], -v[180:181]
	v_fma_f64 v[176:177], s[10:11], v[108:109], v[106:107]
	v_fmac_f64_e32 v[106:107], s[12:13], v[108:109]
	v_add_f64 v[108:109], v[140:141], v[92:93]
	v_add_f64 v[178:179], v[108:109], v[96:97]
	;; [unrolled: 1-line block ×3, first 2 shown]
	v_fmac_f64_e32 v[140:141], -0.5, v[108:109]
	v_add_f64 v[108:109], v[94:95], -v[98:99]
	v_add_f64 v[74:75], v[90:91], v[86:87]
	v_add_f64 v[78:79], v[110:111], v[190:191]
	v_add_f64 v[86:87], v[90:91], -v[86:87]
	v_add_f64 v[90:91], v[110:111], -v[190:191]
	v_fma_f64 v[110:111], s[12:13], v[108:109], v[140:141]
	v_fmac_f64_e32 v[140:141], s[10:11], v[108:109]
	v_add_f64 v[108:109], v[142:143], v[94:95]
	v_add_f64 v[94:95], v[94:95], v[98:99]
	v_fmac_f64_e32 v[142:143], -0.5, v[94:95]
	v_add_f64 v[92:93], v[92:93], -v[96:97]
	v_fma_f64 v[94:95], s[10:11], v[92:93], v[142:143]
	v_fmac_f64_e32 v[142:143], s[12:13], v[92:93]
	v_mul_f64 v[182:183], v[94:95], s[12:13]
	v_mul_f64 v[188:189], v[110:111], s[10:11]
	v_mul_f64 v[190:191], v[142:143], -0.5
	v_add_f64 v[96:97], v[112:113], v[178:179]
	v_fmac_f64_e32 v[182:183], 0.5, v[110:111]
	v_mul_f64 v[186:187], v[140:141], -0.5
	v_fmac_f64_e32 v[188:189], 0.5, v[94:95]
	v_fmac_f64_e32 v[190:191], s[10:11], v[140:141]
	v_add_f64 v[140:141], v[112:113], -v[178:179]
	v_add_f64 v[178:179], v[152:153], v[160:161]
	v_add_f64 v[180:181], v[108:109], v[98:99]
	;; [unrolled: 1-line block ×4, first 2 shown]
	v_add_f64 v[112:113], v[114:115], -v[182:183]
	v_add_f64 v[114:115], v[176:177], -v[188:189]
	v_add_f64 v[176:177], v[100:101], v[152:153]
	v_fmac_f64_e32 v[100:101], -0.5, v[178:179]
	v_add_f64 v[178:179], v[158:159], -v[162:163]
	v_fmac_f64_e32 v[186:187], s[12:13], v[142:143]
	v_add_f64 v[98:99], v[184:185], v[180:181]
	v_add_f64 v[142:143], v[184:185], -v[180:181]
	v_fma_f64 v[180:181], s[12:13], v[178:179], v[100:101]
	v_fmac_f64_e32 v[100:101], s[10:11], v[178:179]
	v_add_f64 v[178:179], v[102:103], v[158:159]
	v_add_f64 v[158:159], v[158:159], v[162:163]
	v_fmac_f64_e32 v[102:103], -0.5, v[158:159]
	v_add_f64 v[152:153], v[152:153], -v[160:161]
	v_fma_f64 v[158:159], s[10:11], v[152:153], v[102:103]
	v_fmac_f64_e32 v[102:103], s[12:13], v[152:153]
	v_add_f64 v[152:153], v[154:155], v[144:145]
	v_add_f64 v[176:177], v[176:177], v[160:161]
	;; [unrolled: 1-line block ×4, first 2 shown]
	v_fmac_f64_e32 v[154:155], -0.5, v[152:153]
	v_add_f64 v[152:153], v[146:147], -v[150:151]
	v_add_f64 v[178:179], v[178:179], v[162:163]
	v_fma_f64 v[162:163], s[12:13], v[152:153], v[154:155]
	v_fmac_f64_e32 v[154:155], s[10:11], v[152:153]
	v_add_f64 v[152:153], v[156:157], v[146:147]
	v_add_f64 v[146:147], v[146:147], v[150:151]
	v_fmac_f64_e32 v[156:157], -0.5, v[146:147]
	v_add_f64 v[144:145], v[144:145], -v[148:149]
	ds_write_b128 v166, v[24:27]
	ds_write_b128 v166, v[20:23] offset:960
	ds_write_b128 v166, v[28:31] offset:1920
	ds_write_b128 v166, v[128:131] offset:2880
	ds_write_b128 v166, v[124:127] offset:3840
	ds_write_b128 v166, v[120:123] offset:4800
	ds_write_b128 v166, v[36:39] offset:5760
	ds_write_b128 v166, v[32:35] offset:6720
	ds_write_b128 v166, v[40:43] offset:7680
	ds_write_b128 v166, v[48:51] offset:8640
	ds_write_b128 v166, v[44:47] offset:9600
	ds_write_b128 v166, v[52:55] offset:10560
	v_lshlrev_b32_e32 v20, 4, v171
	v_fma_f64 v[146:147], s[10:11], v[144:145], v[156:157]
	v_fmac_f64_e32 v[156:157], s[12:13], v[144:145]
	ds_write_b128 v20, v[132:135] offset:11520
	ds_write_b128 v20, v[116:119] offset:12480
	;; [unrolled: 1-line block ×5, first 2 shown]
	v_accvgpr_write_b32 a175, v20
	ds_write_b128 v20, v[64:67] offset:16320
	v_lshlrev_b32_e32 v20, 4, v232
	v_add_f64 v[108:109], v[104:105], v[186:187]
	v_add_f64 v[110:111], v[106:107], v[190:191]
	v_add_f64 v[104:105], v[104:105], -v[186:187]
	v_add_f64 v[106:107], v[106:107], -v[190:191]
	v_mul_f64 v[184:185], v[146:147], s[12:13]
	v_mul_f64 v[186:187], v[154:155], -0.5
	v_mul_f64 v[188:189], v[162:163], s[10:11]
	v_mul_f64 v[190:191], v[156:157], -0.5
	ds_write_b128 v20, v[72:75] offset:17280
	ds_write_b128 v20, v[68:71] offset:18240
	;; [unrolled: 1-line block ×5, first 2 shown]
	v_accvgpr_write_b32 a153, v20
	ds_write_b128 v20, v[88:91] offset:22080
	v_lshlrev_b32_e32 v20, 4, v233
	v_add_f64 v[182:183], v[152:153], v[150:151]
	v_fmac_f64_e32 v[184:185], 0.5, v[162:163]
	v_fmac_f64_e32 v[186:187], s[12:13], v[156:157]
	v_fmac_f64_e32 v[188:189], 0.5, v[146:147]
	v_fmac_f64_e32 v[190:191], s[10:11], v[154:155]
	ds_write_b128 v20, v[96:99] offset:23040
	ds_write_b128 v20, v[92:95] offset:24000
	;; [unrolled: 1-line block ×5, first 2 shown]
	v_add_co_u32_e64 v142, s[0:1], s17, v174
	v_add_f64 v[148:149], v[176:177], v[160:161]
	v_add_f64 v[144:145], v[180:181], v[184:185]
	;; [unrolled: 1-line block ×6, first 2 shown]
	v_add_f64 v[156:157], v[180:181], -v[184:185]
	v_add_f64 v[100:101], v[100:101], -v[186:187]
	;; [unrolled: 1-line block ×4, first 2 shown]
	v_accvgpr_write_b32 a152, v20
	ds_write_b128 v20, v[104:107] offset:27840
	v_lshlrev_b32_e32 v20, 4, v234
	v_addc_co_u32_e64 v143, s[0:1], 0, v175, s[0:1]
	v_add_f64 v[160:161], v[176:177], -v[160:161]
	v_add_f64 v[162:163], v[178:179], -v[182:183]
	ds_write_b128 v20, v[148:151] offset:28800
	ds_write_b128 v20, v[144:147] offset:29760
	;; [unrolled: 1-line block ×5, first 2 shown]
	v_accvgpr_write_b32 a87, v20
	ds_write_b128 v20, v[100:103] offset:33600
	s_waitcnt lgkmcnt(0)
	; wave barrier
	s_waitcnt lgkmcnt(0)
	ds_read_b128 v[236:239], v166
	ds_read_b128 v[136:139], v166 offset:5760
	ds_read_b128 v[132:135], v166 offset:11520
	ds_read_b128 v[128:131], v166 offset:17280
	ds_read_b128 v[124:127], v166 offset:23040
	ds_read_b128 v[120:123], v166 offset:28800
	ds_read_b128 v[232:235], v166 offset:960
	ds_read_b128 v[116:119], v166 offset:6720
	ds_read_b128 v[112:115], v166 offset:12480
	ds_read_b128 v[108:111], v166 offset:18240
	ds_read_b128 v[104:107], v166 offset:24000
	ds_read_b128 v[100:103], v166 offset:29760
	ds_read_b128 v[228:231], v166 offset:1920
	ds_read_b128 v[96:99], v166 offset:7680
	ds_read_b128 v[92:95], v166 offset:13440
	ds_read_b128 v[88:91], v166 offset:19200
	ds_read_b128 v[84:87], v166 offset:24960
	ds_read_b128 v[80:83], v166 offset:30720
	ds_read_b128 v[224:227], v166 offset:2880
	ds_read_b128 v[76:79], v166 offset:8640
	ds_read_b128 v[72:75], v166 offset:14400
	ds_read_b128 v[68:71], v166 offset:20160
	ds_read_b128 v[64:67], v166 offset:25920
	ds_read_b128 v[60:63], v166 offset:31680
	ds_read_b128 v[220:223], v166 offset:3840
	ds_read_b128 v[56:59], v166 offset:9600
	ds_read_b128 v[52:55], v166 offset:15360
	ds_read_b128 v[48:51], v166 offset:21120
	ds_read_b128 v[44:47], v166 offset:26880
	ds_read_b128 v[40:43], v166 offset:32640
	ds_read_b128 v[240:243], v166 offset:4800
	ds_read_b128 v[36:39], v166 offset:10560
	ds_read_b128 v[32:35], v166 offset:16320
	ds_read_b128 v[28:31], v166 offset:22080
	ds_read_b128 v[24:27], v166 offset:27840
	ds_read_b128 v[20:23], v166 offset:33600
	v_lshl_add_u64 v[140:141], v[174:175], 0, s[14:15]
	global_load_dwordx4 v[156:159], v[142:143], off offset:1504
	global_load_dwordx4 v[144:147], v[140:141], off offset:48
	;; [unrolled: 1-line block ×5, first 2 shown]
	s_waitcnt vmcnt(4) lgkmcnt(14)
	v_mul_f64 v[140:141], v[138:139], v[158:159]
	v_fma_f64 v[186:187], v[136:137], v[156:157], -v[140:141]
	v_mul_f64 v[254:255], v[136:137], v[158:159]
	s_waitcnt vmcnt(1)
	v_mul_f64 v[136:137], v[134:135], v[154:155]
	v_fma_f64 v[248:249], v[132:133], v[152:153], -v[136:137]
	v_mul_f64 v[250:251], v[132:133], v[154:155]
	v_mul_f64 v[132:133], v[130:131], v[150:151]
	v_fma_f64 v[244:245], v[128:129], v[148:149], -v[132:133]
	v_mul_f64 v[246:247], v[128:129], v[150:151]
	v_mul_f64 v[128:129], v[126:127], v[146:147]
	s_waitcnt vmcnt(0)
	v_mul_f64 v[188:189], v[120:121], v[214:215]
	v_mad_u64_u32 v[136:137], s[0:1], v170, s16, v[172:173]
	v_fma_f64 v[190:191], v[124:125], v[144:145], -v[128:129]
	v_mul_f64 v[192:193], v[124:125], v[146:147]
	v_mul_f64 v[124:125], v[122:123], v[214:215]
	v_fmac_f64_e32 v[188:189], v[122:123], v[212:213]
	v_add_co_u32_e64 v122, s[0:1], s17, v136
	v_fmac_f64_e32 v[246:247], v[130:131], v[148:149]
	s_nop 0
	v_addc_co_u32_e64 v123, s[0:1], 0, v137, s[0:1]
	v_fmac_f64_e32 v[192:193], v[126:127], v[144:145]
	v_fma_f64 v[252:253], v[120:121], v[212:213], -v[124:125]
	v_lshl_add_u64 v[120:121], v[136:137], 0, s[14:15]
	global_load_dwordx4 v[216:219], v[122:123], off offset:1504
	global_load_dwordx4 v[124:127], v[120:121], off offset:48
	;; [unrolled: 1-line block ×4, first 2 shown]
	v_fmac_f64_e32 v[250:251], v[134:135], v[152:153]
	s_mov_b64 s[0:1], 0x28a0
	s_movk_i32 s15, 0x2000
	v_accvgpr_write_b32 a120, v156
	v_accvgpr_write_b32 a121, v157
	;; [unrolled: 1-line block ×5, first 2 shown]
	s_movk_i32 s16, 0x3000
	v_fmac_f64_e32 v[254:255], v[138:139], v[156:157]
	v_accvgpr_write_b32 a117, v153
	v_accvgpr_write_b32 a118, v154
	v_accvgpr_write_b32 a119, v155
	s_movk_i32 s14, 0x6000
	v_accvgpr_write_b32 a92, v148
	v_accvgpr_write_b32 a46, v144
	v_accvgpr_write_b32 a93, v149
	v_accvgpr_write_b32 a94, v150
	v_accvgpr_write_b32 a95, v151
	v_accvgpr_write_b32 a47, v145
	v_accvgpr_write_b32 a48, v146
	v_accvgpr_write_b32 a49, v147
	s_waitcnt vmcnt(3)
	v_mul_f64 v[120:121], v[118:119], v[218:219]
	v_fma_f64 v[162:163], v[116:117], v[216:217], -v[120:121]
	v_mul_f64 v[132:133], v[116:117], v[218:219]
	s_waitcnt vmcnt(0)
	v_mul_f64 v[116:117], v[114:115], v[210:211]
	v_fma_f64 v[178:179], v[112:113], v[208:209], -v[116:117]
	v_mul_f64 v[180:181], v[112:113], v[210:211]
	v_mul_f64 v[112:113], v[110:111], v[130:131]
	v_fma_f64 v[134:135], v[108:109], v[128:129], -v[112:113]
	v_mul_f64 v[172:173], v[108:109], v[130:131]
	v_mul_f64 v[108:109], v[106:107], v[126:127]
	v_mul_f64 v[184:185], v[104:105], v[126:127]
	v_fma_f64 v[182:183], v[104:105], v[124:125], -v[108:109]
	v_fmac_f64_e32 v[184:185], v[106:107], v[124:125]
	global_load_dwordx4 v[106:109], v[122:123], off offset:1568
	v_fmac_f64_e32 v[172:173], v[110:111], v[128:129]
	v_accvgpr_write_b32 a195, v131
	v_accvgpr_write_b32 a194, v130
	;; [unrolled: 1-line block ×8, first 2 shown]
	v_fmac_f64_e32 v[180:181], v[114:115], v[208:209]
	v_fmac_f64_e32 v[132:133], v[118:119], v[216:217]
	s_waitcnt vmcnt(0)
	v_mul_f64 v[104:105], v[102:103], v[108:109]
	v_fma_f64 v[174:175], v[100:101], v[106:107], -v[104:105]
	v_mul_f64 v[176:177], v[100:101], v[108:109]
	v_lshl_add_u64 v[100:101], v[136:137], 0, s[0:1]
	v_add_co_u32_e64 v104, s[0:1], s15, v136
	v_accvgpr_write_b32 a203, v109
	s_nop 0
	v_addc_co_u32_e64 v105, s[0:1], 0, v137, s[0:1]
	v_accvgpr_write_b32 a202, v108
	v_accvgpr_write_b32 a201, v107
	;; [unrolled: 1-line block ×3, first 2 shown]
	v_fmac_f64_e32 v[176:177], v[102:103], v[106:107]
	global_load_dwordx4 v[204:207], v[104:105], off offset:2208
	global_load_dwordx4 v[106:109], v[100:101], off offset:48
	;; [unrolled: 1-line block ×4, first 2 shown]
	s_mov_b64 s[0:1], 0x3b60
	s_waitcnt vmcnt(3)
	v_mul_f64 v[100:101], v[98:99], v[206:207]
	v_fma_f64 v[100:101], v[96:97], v[204:205], -v[100:101]
	v_mul_f64 v[102:103], v[96:97], v[206:207]
	s_waitcnt vmcnt(0)
	v_mul_f64 v[96:97], v[94:95], v[198:199]
	v_fma_f64 v[158:159], v[92:93], v[196:197], -v[96:97]
	v_mul_f64 v[128:129], v[92:93], v[198:199]
	v_mul_f64 v[92:93], v[90:91], v[112:113]
	v_fma_f64 v[124:125], v[88:89], v[110:111], -v[92:93]
	v_mul_f64 v[126:127], v[88:89], v[112:113]
	v_mul_f64 v[88:89], v[86:87], v[108:109]
	;; [unrolled: 1-line block ×3, first 2 shown]
	v_fma_f64 v[130:131], v[84:85], v[106:107], -v[88:89]
	v_fmac_f64_e32 v[160:161], v[86:87], v[106:107]
	global_load_dwordx4 v[86:89], v[104:105], off offset:2272
	v_accvgpr_write_b32 a183, v113
	v_accvgpr_write_b32 a143, v109
	v_fmac_f64_e32 v[102:103], v[98:99], v[204:205]
	v_accvgpr_write_b32 a182, v112
	v_accvgpr_write_b32 a181, v111
	;; [unrolled: 1-line block ×3, first 2 shown]
	v_fmac_f64_e32 v[126:127], v[90:91], v[110:111]
	v_accvgpr_write_b32 a142, v108
	v_accvgpr_write_b32 a141, v107
	;; [unrolled: 1-line block ×3, first 2 shown]
	v_fmac_f64_e32 v[128:129], v[94:95], v[196:197]
	s_waitcnt vmcnt(0)
	v_mul_f64 v[84:85], v[82:83], v[88:89]
	v_fma_f64 v[154:155], v[80:81], v[86:87], -v[84:85]
	v_mul_f64 v[156:157], v[80:81], v[88:89]
	v_lshl_add_u64 v[80:81], v[136:137], 0, s[0:1]
	v_add_co_u32_e64 v84, s[0:1], s16, v136
	v_accvgpr_write_b32 a207, v89
	s_nop 0
	v_addc_co_u32_e64 v85, s[0:1], 0, v137, s[0:1]
	global_load_dwordx4 v[200:203], v[84:85], off offset:2912
	global_load_dwordx4 v[104:107], v[80:81], off offset:48
	;; [unrolled: 1-line block ×4, first 2 shown]
	v_accvgpr_write_b32 a206, v88
	v_accvgpr_write_b32 a205, v87
	v_accvgpr_write_b32 a204, v86
	v_fmac_f64_e32 v[156:157], v[82:83], v[86:87]
	s_mov_b64 s[0:1], 0x4e20
	s_waitcnt vmcnt(3)
	v_mul_f64 v[80:81], v[78:79], v[202:203]
	v_fma_f64 v[90:91], v[76:77], v[200:201], -v[80:81]
	v_mul_f64 v[92:93], v[76:77], v[202:203]
	s_waitcnt vmcnt(0)
	v_mul_f64 v[76:77], v[74:75], v[110:111]
	v_fma_f64 v[88:89], v[72:73], v[108:109], -v[76:77]
	v_mul_f64 v[94:95], v[72:73], v[110:111]
	v_mul_f64 v[72:73], v[70:71], v[98:99]
	v_accvgpr_write_b32 a147, v99
	v_fma_f64 v[80:81], v[68:69], v[96:97], -v[72:73]
	v_mul_f64 v[82:83], v[68:69], v[98:99]
	v_accvgpr_write_b32 a146, v98
	v_accvgpr_write_b32 a145, v97
	;; [unrolled: 1-line block ×3, first 2 shown]
	s_waitcnt lgkmcnt(13)
	v_mul_f64 v[68:69], v[66:67], v[106:107]
	v_mul_f64 v[98:99], v[64:65], v[106:107]
	v_fmac_f64_e32 v[82:83], v[70:71], v[96:97]
	v_fma_f64 v[96:97], v[64:65], v[104:105], -v[68:69]
	v_fmac_f64_e32 v[98:99], v[66:67], v[104:105]
	global_load_dwordx4 v[66:69], v[84:85], off offset:2976
	v_fmac_f64_e32 v[92:93], v[78:79], v[200:201]
	v_fmac_f64_e32 v[94:95], v[74:75], v[108:109]
	v_accvgpr_write_b32 a70, v104
	v_accvgpr_write_b32 a71, v105
	;; [unrolled: 1-line block ×8, first 2 shown]
	s_waitcnt vmcnt(0) lgkmcnt(12)
	v_mul_f64 v[64:65], v[62:63], v[68:69]
	v_mul_f64 v[86:87], v[60:61], v[68:69]
	v_fma_f64 v[84:85], v[60:61], v[66:67], -v[64:65]
	v_fmac_f64_e32 v[86:87], v[62:63], v[66:67]
	v_lshl_add_u64 v[60:61], v[136:137], 0, s[0:1]
	v_add_co_u32_e64 v62, s[0:1], s18, v136
	v_accvgpr_write_b32 a161, v69
	s_nop 0
	v_addc_co_u32_e64 v63, s[0:1], 0, v137, s[0:1]
	v_accvgpr_write_b32 a160, v68
	v_accvgpr_write_b32 a159, v67
	;; [unrolled: 1-line block ×3, first 2 shown]
	global_load_dwordx4 v[76:79], v[62:63], off offset:3616
	global_load_dwordx4 v[64:67], v[60:61], off offset:48
	;; [unrolled: 1-line block ×4, first 2 shown]
	s_mov_b64 s[0:1], 0x60e0
	s_waitcnt vmcnt(3) lgkmcnt(10)
	v_mul_f64 v[60:61], v[58:59], v[78:79]
	v_fma_f64 v[114:115], v[56:57], v[76:77], -v[60:61]
	v_mul_f64 v[116:117], v[56:57], v[78:79]
	s_waitcnt vmcnt(0) lgkmcnt(9)
	v_mul_f64 v[56:57], v[54:55], v[74:75]
	v_fma_f64 v[112:113], v[52:53], v[72:73], -v[56:57]
	v_mul_f64 v[118:119], v[52:53], v[74:75]
	s_waitcnt lgkmcnt(8)
	v_mul_f64 v[52:53], v[50:51], v[70:71]
	v_fma_f64 v[104:105], v[48:49], v[68:69], -v[52:53]
	v_mul_f64 v[106:107], v[48:49], v[70:71]
	s_waitcnt lgkmcnt(7)
	v_mul_f64 v[48:49], v[46:47], v[66:67]
	v_mul_f64 v[122:123], v[44:45], v[66:67]
	v_fma_f64 v[120:121], v[44:45], v[64:65], -v[48:49]
	v_fmac_f64_e32 v[122:123], v[46:47], v[64:65]
	global_load_dwordx4 v[46:49], v[62:63], off offset:3680
	v_fmac_f64_e32 v[116:117], v[58:59], v[76:77]
	v_fmac_f64_e32 v[118:119], v[54:55], v[72:73]
	;; [unrolled: 1-line block ×3, first 2 shown]
	v_accvgpr_write_b32 a77, v71
	v_accvgpr_write_b32 a76, v70
	;; [unrolled: 1-line block ×16, first 2 shown]
	s_waitcnt vmcnt(0) lgkmcnt(6)
	v_mul_f64 v[44:45], v[42:43], v[48:49]
	v_mul_f64 v[110:111], v[40:41], v[48:49]
	v_fma_f64 v[108:109], v[40:41], v[46:47], -v[44:45]
	v_fmac_f64_e32 v[110:111], v[42:43], v[46:47]
	v_lshl_add_u64 v[40:41], v[136:137], 0, s[0:1]
	v_add_co_u32_e64 v42, s[0:1], s14, v136
	v_accvgpr_write_b32 a179, v49
	s_nop 0
	v_addc_co_u32_e64 v43, s[0:1], 0, v137, s[0:1]
	v_accvgpr_write_b32 a178, v48
	v_accvgpr_write_b32 a177, v47
	;; [unrolled: 1-line block ×3, first 2 shown]
	global_load_dwordx4 v[56:59], v[42:43], off offset:224
	global_load_dwordx4 v[44:47], v[40:41], off offset:48
	;; [unrolled: 1-line block ×4, first 2 shown]
	s_waitcnt vmcnt(3) lgkmcnt(4)
	v_mul_f64 v[40:41], v[38:39], v[58:59]
	v_fma_f64 v[170:171], v[36:37], v[56:57], -v[40:41]
	v_mul_f64 v[136:137], v[36:37], v[58:59]
	s_waitcnt vmcnt(0) lgkmcnt(3)
	v_mul_f64 v[36:37], v[34:35], v[54:55]
	v_fma_f64 v[146:147], v[32:33], v[52:53], -v[36:37]
	v_mul_f64 v[148:149], v[32:33], v[54:55]
	s_waitcnt lgkmcnt(2)
	v_mul_f64 v[32:33], v[30:31], v[50:51]
	v_fma_f64 v[138:139], v[28:29], v[48:49], -v[32:33]
	v_mul_f64 v[140:141], v[28:29], v[50:51]
	s_waitcnt lgkmcnt(1)
	v_mul_f64 v[28:29], v[26:27], v[46:47]
	v_mul_f64 v[152:153], v[24:25], v[46:47]
	v_fma_f64 v[150:151], v[24:25], v[44:45], -v[28:29]
	v_fmac_f64_e32 v[152:153], v[26:27], v[44:45]
	global_load_dwordx4 v[26:29], v[42:43], off offset:288
	v_fmac_f64_e32 v[140:141], v[30:31], v[48:49]
	v_fmac_f64_e32 v[148:149], v[34:35], v[52:53]
	v_accvgpr_write_b32 a69, v47
	v_accvgpr_write_b32 a68, v46
	;; [unrolled: 1-line block ×13, first 2 shown]
	v_fmac_f64_e32 v[136:137], v[38:39], v[56:57]
	v_accvgpr_write_b32 a186, v58
	v_accvgpr_write_b32 a185, v57
	;; [unrolled: 1-line block ×3, first 2 shown]
	s_waitcnt vmcnt(0) lgkmcnt(0)
	v_mul_f64 v[144:145], v[20:21], v[28:29]
	v_mul_f64 v[24:25], v[22:23], v[28:29]
	v_fmac_f64_e32 v[144:145], v[22:23], v[26:27]
	v_add_f64 v[22:23], v[248:249], v[190:191]
	v_fma_f64 v[142:143], v[20:21], v[26:27], -v[24:25]
	v_accvgpr_write_b32 a165, v29
	v_add_f64 v[20:21], v[236:237], v[248:249]
	v_fmac_f64_e32 v[236:237], -0.5, v[22:23]
	v_add_f64 v[22:23], v[250:251], -v[192:193]
	v_add_f64 v[24:25], v[250:251], v[192:193]
	v_accvgpr_write_b32 a164, v28
	v_accvgpr_write_b32 a163, v27
	;; [unrolled: 1-line block ×3, first 2 shown]
	v_fma_f64 v[26:27], s[12:13], v[22:23], v[236:237]
	v_fmac_f64_e32 v[236:237], s[10:11], v[22:23]
	v_add_f64 v[22:23], v[238:239], v[250:251]
	v_fmac_f64_e32 v[238:239], -0.5, v[24:25]
	v_add_f64 v[24:25], v[248:249], -v[190:191]
	v_add_f64 v[28:29], v[244:245], v[252:253]
	v_fma_f64 v[30:31], s[10:11], v[24:25], v[238:239]
	v_fmac_f64_e32 v[238:239], s[12:13], v[24:25]
	v_add_f64 v[24:25], v[186:187], v[244:245]
	v_fmac_f64_e32 v[186:187], -0.5, v[28:29]
	v_add_f64 v[28:29], v[246:247], -v[188:189]
	v_fma_f64 v[32:33], s[12:13], v[28:29], v[186:187]
	v_fmac_f64_e32 v[186:187], s[10:11], v[28:29]
	v_add_f64 v[28:29], v[254:255], v[246:247]
	v_add_f64 v[34:35], v[28:29], v[188:189]
	;; [unrolled: 1-line block ×3, first 2 shown]
	v_fmac_f64_e32 v[254:255], -0.5, v[28:29]
	v_add_f64 v[28:29], v[244:245], -v[252:253]
	v_fma_f64 v[36:37], s[10:11], v[28:29], v[254:255]
	v_fmac_f64_e32 v[254:255], s[12:13], v[28:29]
	v_mul_f64 v[28:29], v[36:37], s[12:13]
	v_fmac_f64_e32 v[28:29], 0.5, v[32:33]
	v_mul_f64 v[32:33], v[32:33], s[10:11]
	v_add_f64 v[20:21], v[20:21], v[190:191]
	v_add_f64 v[22:23], v[22:23], v[192:193]
	;; [unrolled: 1-line block ×3, first 2 shown]
	v_fmac_f64_e32 v[32:33], 0.5, v[36:37]
	v_add_f64 v[248:249], v[20:21], v[24:25]
	v_add_f64 v[244:245], v[26:27], v[28:29]
	v_add_f64 v[250:251], v[22:23], v[34:35]
	v_add_f64 v[246:247], v[30:31], v[32:33]
	v_add_f64 v[24:25], v[20:21], -v[24:25]
	v_add_f64 v[20:21], v[26:27], -v[28:29]
	;; [unrolled: 1-line block ×4, first 2 shown]
	v_add_f64 v[32:33], v[232:233], v[178:179]
	v_add_f64 v[44:45], v[32:33], v[182:183]
	;; [unrolled: 1-line block ×3, first 2 shown]
	v_fmac_f64_e32 v[232:233], -0.5, v[32:33]
	v_add_f64 v[32:33], v[180:181], -v[184:185]
	v_fma_f64 v[46:47], s[12:13], v[32:33], v[232:233]
	v_fmac_f64_e32 v[232:233], s[10:11], v[32:33]
	v_add_f64 v[32:33], v[234:235], v[180:181]
	v_add_f64 v[50:51], v[32:33], v[184:185]
	;; [unrolled: 1-line block ×3, first 2 shown]
	v_fmac_f64_e32 v[234:235], -0.5, v[32:33]
	v_add_f64 v[32:33], v[178:179], -v[182:183]
	v_fma_f64 v[54:55], s[10:11], v[32:33], v[234:235]
	v_fmac_f64_e32 v[234:235], s[12:13], v[32:33]
	v_add_f64 v[32:33], v[162:163], v[134:135]
	v_add_f64 v[48:49], v[32:33], v[174:175]
	;; [unrolled: 1-line block ×3, first 2 shown]
	v_fmac_f64_e32 v[162:163], -0.5, v[32:33]
	v_add_f64 v[32:33], v[172:173], -v[176:177]
	v_mul_f64 v[38:39], v[186:187], -0.5
	v_fma_f64 v[34:35], s[12:13], v[32:33], v[162:163]
	v_fmac_f64_e32 v[162:163], s[10:11], v[32:33]
	v_add_f64 v[32:33], v[132:133], v[172:173]
	v_fmac_f64_e32 v[38:39], s[12:13], v[254:255]
	v_add_f64 v[56:57], v[32:33], v[176:177]
	v_add_f64 v[252:253], v[236:237], v[38:39]
	v_add_f64 v[28:29], v[236:237], -v[38:39]
	v_add_f64 v[38:39], v[50:51], v[56:57]
	v_add_f64 v[50:51], v[50:51], -v[56:57]
	v_add_f64 v[56:57], v[228:229], v[158:159]
	v_add_f64 v[68:69], v[56:57], v[130:131]
	;; [unrolled: 1-line block ×3, first 2 shown]
	v_fmac_f64_e32 v[228:229], -0.5, v[56:57]
	v_add_f64 v[56:57], v[128:129], -v[160:161]
	v_fma_f64 v[70:71], s[12:13], v[56:57], v[228:229]
	v_fmac_f64_e32 v[228:229], s[10:11], v[56:57]
	v_add_f64 v[56:57], v[230:231], v[128:129]
	v_add_f64 v[32:33], v[172:173], v[176:177]
	;; [unrolled: 1-line block ×4, first 2 shown]
	v_fmac_f64_e32 v[132:133], -0.5, v[32:33]
	v_add_f64 v[32:33], v[134:135], -v[174:175]
	v_fmac_f64_e32 v[230:231], -0.5, v[56:57]
	v_add_f64 v[56:57], v[158:159], -v[130:131]
	v_fma_f64 v[42:43], s[10:11], v[32:33], v[132:133]
	v_fma_f64 v[78:79], s[10:11], v[56:57], v[230:231]
	v_fmac_f64_e32 v[230:231], s[12:13], v[56:57]
	v_add_f64 v[56:57], v[100:101], v[124:125]
	v_mul_f64 v[36:37], v[254:255], -0.5
	v_fmac_f64_e32 v[132:133], s[12:13], v[32:33]
	v_mul_f64 v[52:53], v[42:43], s[12:13]
	v_mul_f64 v[58:59], v[162:163], -0.5
	v_add_f64 v[72:73], v[56:57], v[154:155]
	v_add_f64 v[56:57], v[124:125], v[154:155]
	v_fmac_f64_e32 v[36:37], s[10:11], v[186:187]
	v_fmac_f64_e32 v[52:53], 0.5, v[34:35]
	v_fmac_f64_e32 v[58:59], s[12:13], v[132:133]
	v_fmac_f64_e32 v[100:101], -0.5, v[56:57]
	v_add_f64 v[56:57], v[126:127], -v[156:157]
	v_add_f64 v[254:255], v[238:239], v[36:37]
	v_add_f64 v[30:31], v[238:239], -v[36:37]
	v_add_f64 v[36:37], v[44:45], v[48:49]
	v_add_f64 v[32:33], v[46:47], v[52:53]
	;; [unrolled: 1-line block ×3, first 2 shown]
	v_add_f64 v[48:49], v[44:45], -v[48:49]
	v_add_f64 v[44:45], v[46:47], -v[52:53]
	;; [unrolled: 1-line block ×3, first 2 shown]
	v_fma_f64 v[58:59], s[12:13], v[56:57], v[100:101]
	v_fmac_f64_e32 v[100:101], s[10:11], v[56:57]
	v_add_f64 v[56:57], v[102:103], v[126:127]
	v_add_f64 v[128:129], v[56:57], v[156:157]
	;; [unrolled: 1-line block ×3, first 2 shown]
	v_fmac_f64_e32 v[102:103], -0.5, v[56:57]
	v_add_f64 v[56:57], v[124:125], -v[154:155]
	v_fma_f64 v[66:67], s[10:11], v[56:57], v[102:103]
	v_fmac_f64_e32 v[102:103], s[12:13], v[56:57]
	v_mul_f64 v[124:125], v[100:101], -0.5
	v_mul_f64 v[60:61], v[34:35], s[10:11]
	v_mul_f64 v[76:77], v[66:67], s[12:13]
	v_fmac_f64_e32 v[124:125], s[12:13], v[102:103]
	v_mul_f64 v[126:127], v[58:59], s[10:11]
	v_mul_f64 v[102:103], v[102:103], -0.5
	v_fmac_f64_e32 v[60:61], 0.5, v[42:43]
	v_fmac_f64_e32 v[76:77], 0.5, v[58:59]
	;; [unrolled: 1-line block ×3, first 2 shown]
	v_fmac_f64_e32 v[102:103], s[10:11], v[100:101]
	v_add_f64 v[34:35], v[54:55], v[60:61]
	v_add_f64 v[46:47], v[54:55], -v[60:61]
	v_add_f64 v[60:61], v[68:69], v[72:73]
	v_add_f64 v[56:57], v[70:71], v[76:77]
	;; [unrolled: 1-line block ×4, first 2 shown]
	v_add_f64 v[72:73], v[68:69], -v[72:73]
	v_add_f64 v[68:69], v[70:71], -v[76:77]
	;; [unrolled: 1-line block ×4, first 2 shown]
	v_add_f64 v[102:103], v[88:89], v[96:97]
	v_add_f64 v[100:101], v[224:225], v[88:89]
	v_fmac_f64_e32 v[224:225], -0.5, v[102:103]
	v_add_f64 v[102:103], v[94:95], -v[98:99]
	v_add_f64 v[64:65], v[228:229], v[124:125]
	v_add_f64 v[76:77], v[228:229], -v[124:125]
	v_fma_f64 v[124:125], s[12:13], v[102:103], v[224:225]
	v_fmac_f64_e32 v[224:225], s[10:11], v[102:103]
	v_add_f64 v[102:103], v[226:227], v[94:95]
	v_add_f64 v[94:95], v[94:95], v[98:99]
	v_fmac_f64_e32 v[226:227], -0.5, v[94:95]
	v_add_f64 v[88:89], v[88:89], -v[96:97]
	v_fma_f64 v[94:95], s[10:11], v[88:89], v[226:227]
	v_fmac_f64_e32 v[226:227], s[12:13], v[88:89]
	v_add_f64 v[88:89], v[90:91], v[80:81]
	v_add_f64 v[100:101], v[100:101], v[96:97]
	;; [unrolled: 1-line block ×4, first 2 shown]
	v_fmac_f64_e32 v[90:91], -0.5, v[88:89]
	v_add_f64 v[88:89], v[82:83], -v[86:87]
	v_add_f64 v[102:103], v[102:103], v[98:99]
	v_fma_f64 v[98:99], s[12:13], v[88:89], v[90:91]
	v_fmac_f64_e32 v[90:91], s[10:11], v[88:89]
	v_add_f64 v[88:89], v[92:93], v[82:83]
	v_add_f64 v[82:83], v[82:83], v[86:87]
	v_mul_f64 v[62:63], v[132:133], -0.5
	v_fmac_f64_e32 v[92:93], -0.5, v[82:83]
	v_add_f64 v[80:81], v[80:81], -v[84:85]
	v_fmac_f64_e32 v[62:63], s[10:11], v[162:163]
	v_fma_f64 v[82:83], s[10:11], v[80:81], v[92:93]
	v_add_f64 v[42:43], v[234:235], v[62:63]
	v_add_f64 v[54:55], v[234:235], -v[62:63]
	v_add_f64 v[62:63], v[74:75], v[128:129]
	v_add_f64 v[74:75], v[74:75], -v[128:129]
	v_add_f64 v[126:127], v[88:89], v[86:87]
	v_mul_f64 v[128:129], v[82:83], s[12:13]
	v_fmac_f64_e32 v[92:93], s[12:13], v[80:81]
	v_fmac_f64_e32 v[128:129], 0.5, v[98:99]
	v_mul_f64 v[130:131], v[90:91], -0.5
	v_add_f64 v[86:87], v[102:103], v[126:127]
	v_mul_f64 v[132:133], v[98:99], s[10:11]
	v_add_f64 v[98:99], v[102:103], -v[126:127]
	v_add_f64 v[126:127], v[112:113], v[120:121]
	v_add_f64 v[80:81], v[124:125], v[128:129]
	v_fmac_f64_e32 v[130:131], s[12:13], v[92:93]
	v_mul_f64 v[134:135], v[92:93], -0.5
	v_add_f64 v[92:93], v[124:125], -v[128:129]
	v_add_f64 v[124:125], v[220:221], v[112:113]
	v_fmac_f64_e32 v[220:221], -0.5, v[126:127]
	v_add_f64 v[126:127], v[118:119], -v[122:123]
	v_fma_f64 v[128:129], s[12:13], v[126:127], v[220:221]
	v_fmac_f64_e32 v[220:221], s[10:11], v[126:127]
	v_add_f64 v[126:127], v[222:223], v[118:119]
	v_add_f64 v[118:119], v[118:119], v[122:123]
	v_fmac_f64_e32 v[222:223], -0.5, v[118:119]
	v_add_f64 v[112:113], v[112:113], -v[120:121]
	v_fma_f64 v[118:119], s[10:11], v[112:113], v[222:223]
	v_fmac_f64_e32 v[222:223], s[12:13], v[112:113]
	v_add_f64 v[112:113], v[114:115], v[104:105]
	v_add_f64 v[124:125], v[124:125], v[120:121]
	;; [unrolled: 1-line block ×4, first 2 shown]
	v_fmac_f64_e32 v[114:115], -0.5, v[112:113]
	v_add_f64 v[112:113], v[106:107], -v[110:111]
	v_add_f64 v[126:127], v[126:127], v[122:123]
	v_fma_f64 v[122:123], s[12:13], v[112:113], v[114:115]
	v_fmac_f64_e32 v[114:115], s[10:11], v[112:113]
	v_add_f64 v[112:113], v[116:117], v[106:107]
	v_add_f64 v[106:107], v[106:107], v[110:111]
	v_fmac_f64_e32 v[116:117], -0.5, v[106:107]
	v_add_f64 v[104:105], v[104:105], -v[108:109]
	v_fmac_f64_e32 v[132:133], 0.5, v[82:83]
	v_fmac_f64_e32 v[134:135], s[10:11], v[90:91]
	v_fma_f64 v[106:107], s[10:11], v[104:105], v[116:117]
	v_add_f64 v[84:85], v[100:101], v[96:97]
	v_add_f64 v[88:89], v[224:225], v[130:131]
	;; [unrolled: 1-line block ×4, first 2 shown]
	v_add_f64 v[96:97], v[100:101], -v[96:97]
	v_add_f64 v[100:101], v[224:225], -v[130:131]
	;; [unrolled: 1-line block ×4, first 2 shown]
	v_add_f64 v[130:131], v[112:113], v[110:111]
	v_fmac_f64_e32 v[116:117], s[12:13], v[104:105]
	v_mul_f64 v[132:133], v[106:107], s[12:13]
	v_mul_f64 v[134:135], v[114:115], -0.5
	v_fmac_f64_e32 v[132:133], 0.5, v[122:123]
	v_fmac_f64_e32 v[134:135], s[12:13], v[116:117]
	v_add_f64 v[110:111], v[126:127], v[130:131]
	v_mul_f64 v[154:155], v[122:123], s[10:11]
	v_add_f64 v[122:123], v[126:127], -v[130:131]
	v_add_f64 v[130:131], v[146:147], v[150:151]
	v_add_f64 v[108:109], v[124:125], v[120:121]
	;; [unrolled: 1-line block ×4, first 2 shown]
	v_mul_f64 v[156:157], v[116:117], -0.5
	v_add_f64 v[120:121], v[124:125], -v[120:121]
	v_add_f64 v[116:117], v[128:129], -v[132:133]
	;; [unrolled: 1-line block ×3, first 2 shown]
	v_add_f64 v[128:129], v[240:241], v[146:147]
	v_fmac_f64_e32 v[240:241], -0.5, v[130:131]
	v_add_f64 v[130:131], v[148:149], -v[152:153]
	v_add_f64 v[134:135], v[148:149], v[152:153]
	v_fma_f64 v[132:133], s[12:13], v[130:131], v[240:241]
	v_fmac_f64_e32 v[240:241], s[10:11], v[130:131]
	v_add_f64 v[130:131], v[242:243], v[148:149]
	v_fmac_f64_e32 v[242:243], -0.5, v[134:135]
	v_add_f64 v[134:135], v[146:147], -v[150:151]
	v_add_f64 v[148:149], v[138:139], v[142:143]
	v_fma_f64 v[146:147], s[10:11], v[134:135], v[242:243]
	v_fmac_f64_e32 v[242:243], s[12:13], v[134:135]
	;; [unrolled: 6-line block ×3, first 2 shown]
	v_add_f64 v[148:149], v[136:137], v[140:141]
	v_add_f64 v[140:141], v[140:141], v[144:145]
	v_fmac_f64_e32 v[136:137], -0.5, v[140:141]
	v_add_f64 v[138:139], v[138:139], -v[142:143]
	v_add_f64 v[134:135], v[134:135], v[142:143]
	v_fma_f64 v[140:141], s[10:11], v[138:139], v[136:137]
	v_fmac_f64_e32 v[136:137], s[12:13], v[138:139]
	v_mul_f64 v[142:143], v[170:171], -0.5
	v_add_f64 v[148:149], v[148:149], v[144:145]
	v_mul_f64 v[138:139], v[140:141], s[12:13]
	v_fmac_f64_e32 v[142:143], s[12:13], v[136:137]
	v_mul_f64 v[144:145], v[150:151], s[10:11]
	v_mul_f64 v[136:137], v[136:137], -0.5
	v_fmac_f64_e32 v[154:155], 0.5, v[106:107]
	v_fmac_f64_e32 v[156:157], s[10:11], v[114:115]
	v_add_f64 v[130:131], v[130:131], v[152:153]
	v_fmac_f64_e32 v[138:139], 0.5, v[150:151]
	v_fmac_f64_e32 v[144:145], 0.5, v[140:141]
	v_fmac_f64_e32 v[136:137], s[10:11], v[170:171]
	v_add_f64 v[106:107], v[118:119], v[154:155]
	v_add_f64 v[114:115], v[222:223], v[156:157]
	v_add_f64 v[118:119], v[118:119], -v[154:155]
	v_add_f64 v[126:127], v[222:223], -v[156:157]
	v_add_f64 v[232:233], v[128:129], v[134:135]
	v_add_f64 v[220:221], v[132:133], v[138:139]
	v_add_f64 v[224:225], v[240:241], v[142:143]
	v_add_f64 v[234:235], v[130:131], v[148:149]
	v_add_f64 v[222:223], v[146:147], v[144:145]
	v_add_f64 v[226:227], v[242:243], v[136:137]
	v_add_f64 v[228:229], v[128:129], -v[134:135]
	v_add_f64 v[236:237], v[132:133], -v[138:139]
	;; [unrolled: 1-line block ×6, first 2 shown]
	ds_write_b128 v166, v[248:251]
	ds_write_b128 v166, v[244:247] offset:5760
	ds_write_b128 v166, v[252:255] offset:11520
	;; [unrolled: 1-line block ×35, first 2 shown]
	v_accvgpr_read_b32 v24, a0
	v_lshlrev_b32_e32 v168, 4, v24
	s_waitcnt lgkmcnt(0)
	; wave barrier
	s_waitcnt lgkmcnt(0)
	global_load_dwordx4 v[24:27], v168, s[8:9]
	ds_read_b128 v[20:23], v166
	v_lshl_add_u64 v[36:37], s[8:9], 0, v[168:169]
	v_add_co_u32_e64 v34, s[0:1], s17, v36
	s_waitcnt vmcnt(0) lgkmcnt(0)
	v_mul_f64 v[28:29], v[22:23], v[26:27]
	v_mul_f64 v[30:31], v[20:21], v[26:27]
	v_fma_f64 v[28:29], v[20:21], v[24:25], -v[28:29]
	v_fmac_f64_e32 v[30:31], v[22:23], v[24:25]
	global_load_dwordx4 v[24:27], v168, s[8:9] offset:3456
	ds_read_b128 v[20:23], v166 offset:3456
	ds_write_b128 v166, v[28:31]
	v_addc_co_u32_e64 v35, s[0:1], 0, v37, s[0:1]
	v_add_co_u32_e64 v32, s[0:1], s15, v36
	s_waitcnt vmcnt(0) lgkmcnt(1)
	v_mul_f64 v[28:29], v[22:23], v[26:27]
	v_mul_f64 v[30:31], v[20:21], v[26:27]
	v_fma_f64 v[28:29], v[20:21], v[24:25], -v[28:29]
	v_fmac_f64_e32 v[30:31], v[22:23], v[24:25]
	global_load_dwordx4 v[24:27], v[34:35], off offset:2816
	ds_read_b128 v[20:23], v166 offset:6912
	ds_write_b128 v166, v[28:31] offset:3456
	v_addc_co_u32_e64 v33, s[0:1], 0, v37, s[0:1]
	s_waitcnt vmcnt(0) lgkmcnt(1)
	v_mul_f64 v[28:29], v[22:23], v[26:27]
	v_mul_f64 v[30:31], v[20:21], v[26:27]
	v_fma_f64 v[28:29], v[20:21], v[24:25], -v[28:29]
	v_fmac_f64_e32 v[30:31], v[22:23], v[24:25]
	global_load_dwordx4 v[24:27], v[32:33], off offset:2176
	ds_read_b128 v[20:23], v166 offset:10368
	ds_write_b128 v166, v[28:31] offset:6912
	s_waitcnt vmcnt(0) lgkmcnt(1)
	v_mul_f64 v[28:29], v[22:23], v[26:27]
	v_mul_f64 v[30:31], v[20:21], v[26:27]
	v_fma_f64 v[28:29], v[20:21], v[24:25], -v[28:29]
	v_fmac_f64_e32 v[30:31], v[22:23], v[24:25]
	ds_write_b128 v166, v[28:31] offset:10368
	v_add_co_u32_e64 v30, s[0:1], s16, v36
	ds_read_b128 v[20:23], v166 offset:13824
	s_nop 0
	v_addc_co_u32_e64 v31, s[0:1], 0, v37, s[0:1]
	global_load_dwordx4 v[24:27], v[30:31], off offset:1536
	s_waitcnt vmcnt(0) lgkmcnt(0)
	v_mul_f64 v[28:29], v[22:23], v[26:27]
	v_fma_f64 v[38:39], v[20:21], v[24:25], -v[28:29]
	v_add_co_u32_e64 v28, s[0:1], s18, v36
	v_mul_f64 v[40:41], v[20:21], v[26:27]
	s_nop 0
	v_addc_co_u32_e64 v29, s[0:1], 0, v37, s[0:1]
	v_fmac_f64_e32 v[40:41], v[22:23], v[24:25]
	global_load_dwordx4 v[24:27], v[28:29], off offset:896
	ds_read_b128 v[20:23], v166 offset:17280
	s_movk_i32 s0, 0x5000
	ds_write_b128 v166, v[38:41] offset:13824
	s_waitcnt vmcnt(0) lgkmcnt(1)
	v_mul_f64 v[38:39], v[22:23], v[26:27]
	v_mul_f64 v[40:41], v[20:21], v[26:27]
	v_add_co_u32_e64 v26, s[0:1], s0, v36
	v_fma_f64 v[38:39], v[20:21], v[24:25], -v[38:39]
	v_fmac_f64_e32 v[40:41], v[22:23], v[24:25]
	v_addc_co_u32_e64 v27, s[0:1], 0, v37, s[0:1]
	ds_write_b128 v166, v[38:41] offset:17280
	global_load_dwordx4 v[38:41], v[26:27], off offset:256
	ds_read_b128 v[20:23], v166 offset:20736
	s_movk_i32 s0, 0x7000
	s_waitcnt vmcnt(0) lgkmcnt(0)
	v_mul_f64 v[24:25], v[22:23], v[40:41]
	v_mul_f64 v[44:45], v[20:21], v[40:41]
	v_fma_f64 v[42:43], v[20:21], v[38:39], -v[24:25]
	v_fmac_f64_e32 v[44:45], v[22:23], v[38:39]
	global_load_dwordx4 v[38:41], v[26:27], off offset:3712
	ds_read_b128 v[20:23], v166 offset:24192
	ds_write_b128 v166, v[42:45] offset:20736
	s_waitcnt vmcnt(0) lgkmcnt(1)
	v_mul_f64 v[24:25], v[22:23], v[40:41]
	v_fma_f64 v[42:43], v[20:21], v[38:39], -v[24:25]
	scratch_load_dword v24, off, off offset:48 ; 4-byte Folded Reload
	v_mul_f64 v[44:45], v[20:21], v[40:41]
	v_fmac_f64_e32 v[44:45], v[22:23], v[38:39]
	ds_read_b128 v[20:23], v166 offset:27648
	ds_write_b128 v166, v[42:45] offset:24192
	s_waitcnt vmcnt(0)
	global_load_dwordx4 v[38:41], v24, s[8:9]
	s_waitcnt vmcnt(0) lgkmcnt(1)
	v_mul_f64 v[24:25], v[22:23], v[40:41]
	v_fma_f64 v[42:43], v[20:21], v[38:39], -v[24:25]
	v_add_co_u32_e64 v24, s[0:1], s0, v36
	v_mul_f64 v[44:45], v[20:21], v[40:41]
	s_nop 0
	v_addc_co_u32_e64 v25, s[0:1], 0, v37, s[0:1]
	v_fmac_f64_e32 v[44:45], v[22:23], v[38:39]
	global_load_dwordx4 v[38:41], v[24:25], off offset:2432
	ds_read_b128 v[20:23], v166 offset:31104
	ds_write_b128 v166, v[42:45] offset:27648
	s_waitcnt vmcnt(0) lgkmcnt(1)
	v_mul_f64 v[42:43], v[22:23], v[40:41]
	v_mul_f64 v[44:45], v[20:21], v[40:41]
	v_fma_f64 v[42:43], v[20:21], v[38:39], -v[42:43]
	v_fmac_f64_e32 v[44:45], v[22:23], v[38:39]
	global_load_dwordx4 v[38:41], v168, s[8:9] offset:960
	ds_read_b128 v[20:23], v166 offset:960
	ds_write_b128 v166, v[42:45] offset:31104
	s_waitcnt vmcnt(0) lgkmcnt(1)
	v_mul_f64 v[42:43], v[22:23], v[40:41]
	v_mul_f64 v[44:45], v[20:21], v[40:41]
	v_fma_f64 v[42:43], v[20:21], v[38:39], -v[42:43]
	v_fmac_f64_e32 v[44:45], v[22:23], v[38:39]
	global_load_dwordx4 v[38:41], v[34:35], off offset:320
	ds_read_b128 v[20:23], v166 offset:4416
	ds_write_b128 v166, v[42:45] offset:960
	s_waitcnt vmcnt(0) lgkmcnt(1)
	v_mul_f64 v[42:43], v[22:23], v[40:41]
	v_mul_f64 v[44:45], v[20:21], v[40:41]
	v_fma_f64 v[42:43], v[20:21], v[38:39], -v[42:43]
	v_fmac_f64_e32 v[44:45], v[22:23], v[38:39]
	global_load_dwordx4 v[38:41], v[34:35], off offset:3776
	;; [unrolled: 8-line block ×6, first 2 shown]
	ds_read_b128 v[20:23], v166 offset:21696
	ds_write_b128 v166, v[42:45] offset:18240
	s_waitcnt vmcnt(0) lgkmcnt(1)
	v_mul_f64 v[42:43], v[22:23], v[40:41]
	v_mul_f64 v[44:45], v[20:21], v[40:41]
	v_fma_f64 v[42:43], v[20:21], v[38:39], -v[42:43]
	v_fmac_f64_e32 v[44:45], v[22:23], v[38:39]
	v_add_co_u32_e64 v38, s[0:1], s14, v36
	ds_write_b128 v166, v[42:45] offset:21696
	s_nop 0
	v_addc_co_u32_e64 v39, s[0:1], 0, v37, s[0:1]
	global_load_dwordx4 v[40:43], v[38:39], off offset:576
	ds_read_b128 v[20:23], v166 offset:25152
	s_mov_b32 s0, 0x8000
	s_waitcnt vmcnt(0) lgkmcnt(0)
	v_mul_f64 v[44:45], v[22:23], v[42:43]
	v_mul_f64 v[46:47], v[20:21], v[42:43]
	v_fma_f64 v[44:45], v[20:21], v[40:41], -v[44:45]
	v_fmac_f64_e32 v[46:47], v[22:23], v[40:41]
	global_load_dwordx4 v[40:43], v[38:39], off offset:4032
	ds_read_b128 v[20:23], v166 offset:28608
	ds_write_b128 v166, v[44:47] offset:25152
	s_waitcnt vmcnt(0) lgkmcnt(1)
	v_mul_f64 v[44:45], v[22:23], v[42:43]
	v_mul_f64 v[46:47], v[20:21], v[42:43]
	v_fma_f64 v[44:45], v[20:21], v[40:41], -v[44:45]
	v_fmac_f64_e32 v[46:47], v[22:23], v[40:41]
	global_load_dwordx4 v[40:43], v[24:25], off offset:3392
	ds_read_b128 v[20:23], v166 offset:32064
	ds_write_b128 v166, v[44:47] offset:28608
	s_waitcnt vmcnt(0) lgkmcnt(1)
	v_mul_f64 v[44:45], v[22:23], v[42:43]
	v_mul_f64 v[46:47], v[20:21], v[42:43]
	v_fma_f64 v[44:45], v[20:21], v[40:41], -v[44:45]
	v_fmac_f64_e32 v[46:47], v[22:23], v[40:41]
	global_load_dwordx4 v[40:43], v168, s[8:9] offset:1920
	ds_read_b128 v[20:23], v166 offset:1920
	ds_write_b128 v166, v[44:47] offset:32064
	s_waitcnt vmcnt(0) lgkmcnt(1)
	v_mul_f64 v[44:45], v[22:23], v[42:43]
	v_mul_f64 v[46:47], v[20:21], v[42:43]
	v_fma_f64 v[44:45], v[20:21], v[40:41], -v[44:45]
	v_fmac_f64_e32 v[46:47], v[22:23], v[40:41]
	global_load_dwordx4 v[40:43], v[34:35], off offset:1280
	ds_read_b128 v[20:23], v166 offset:5376
	ds_write_b128 v166, v[44:47] offset:1920
	s_waitcnt vmcnt(0) lgkmcnt(1)
	v_mul_f64 v[44:45], v[22:23], v[42:43]
	v_mul_f64 v[46:47], v[20:21], v[42:43]
	v_fma_f64 v[44:45], v[20:21], v[40:41], -v[44:45]
	v_fmac_f64_e32 v[46:47], v[22:23], v[40:41]
	global_load_dwordx4 v[40:43], v[32:33], off offset:640
	ds_read_b128 v[20:23], v166 offset:8832
	ds_write_b128 v166, v[44:47] offset:5376
	s_waitcnt vmcnt(0) lgkmcnt(1)
	v_mul_f64 v[44:45], v[22:23], v[42:43]
	v_mul_f64 v[46:47], v[20:21], v[42:43]
	v_fma_f64 v[44:45], v[20:21], v[40:41], -v[44:45]
	v_fmac_f64_e32 v[46:47], v[22:23], v[40:41]
	scratch_load_dword v40, off, off offset:52 ; 4-byte Folded Reload
	ds_read_b128 v[20:23], v166 offset:12288
	ds_write_b128 v166, v[44:47] offset:8832
	s_waitcnt vmcnt(0)
	global_load_dwordx4 v[40:43], v40, s[8:9]
	s_waitcnt vmcnt(0) lgkmcnt(1)
	v_mul_f64 v[44:45], v[22:23], v[42:43]
	v_mul_f64 v[46:47], v[20:21], v[42:43]
	v_fma_f64 v[44:45], v[20:21], v[40:41], -v[44:45]
	v_fmac_f64_e32 v[46:47], v[22:23], v[40:41]
	global_load_dwordx4 v[40:43], v[30:31], off offset:3456
	ds_read_b128 v[20:23], v166 offset:15744
	ds_write_b128 v166, v[44:47] offset:12288
	s_waitcnt vmcnt(0) lgkmcnt(1)
	v_mul_f64 v[44:45], v[22:23], v[42:43]
	v_mul_f64 v[46:47], v[20:21], v[42:43]
	v_fma_f64 v[44:45], v[20:21], v[40:41], -v[44:45]
	v_fmac_f64_e32 v[46:47], v[22:23], v[40:41]
	global_load_dwordx4 v[40:43], v[28:29], off offset:2816
	ds_read_b128 v[20:23], v166 offset:19200
	ds_write_b128 v166, v[44:47] offset:15744
	;; [unrolled: 8-line block ×5, first 2 shown]
	s_waitcnt vmcnt(0) lgkmcnt(1)
	v_mul_f64 v[44:45], v[22:23], v[42:43]
	v_mul_f64 v[46:47], v[20:21], v[42:43]
	v_fma_f64 v[44:45], v[20:21], v[40:41], -v[44:45]
	v_fmac_f64_e32 v[46:47], v[22:23], v[40:41]
	v_add_co_u32_e64 v40, s[0:1], s0, v36
	ds_write_b128 v166, v[44:47] offset:29568
	s_nop 0
	v_addc_co_u32_e64 v41, s[0:1], 0, v37, s[0:1]
	global_load_dwordx4 v[42:45], v[40:41], off offset:256
	ds_read_b128 v[20:23], v166 offset:33024
	s_waitcnt vmcnt(0) lgkmcnt(0)
	v_mul_f64 v[46:47], v[22:23], v[44:45]
	v_mul_f64 v[48:49], v[20:21], v[44:45]
	v_fma_f64 v[46:47], v[20:21], v[42:43], -v[46:47]
	v_fmac_f64_e32 v[48:49], v[22:23], v[42:43]
	ds_write_b128 v166, v[46:49] offset:33024
	s_and_saveexec_b64 s[0:1], vcc
	s_cbranch_execz .LBB0_9
; %bb.8:
	global_load_dwordx4 v[42:45], v[36:37], off offset:2880
	ds_read_b128 v[20:23], v166 offset:2880
	s_waitcnt vmcnt(0) lgkmcnt(0)
	v_mul_f64 v[36:37], v[22:23], v[44:45]
	v_fma_f64 v[46:47], v[20:21], v[42:43], -v[36:37]
	global_load_dwordx4 v[34:37], v[34:35], off offset:2240
	v_mul_f64 v[48:49], v[20:21], v[44:45]
	v_fmac_f64_e32 v[48:49], v[22:23], v[42:43]
	ds_read_b128 v[20:23], v166 offset:6336
	ds_write_b128 v166, v[46:49] offset:2880
	s_waitcnt vmcnt(0) lgkmcnt(1)
	v_mul_f64 v[42:43], v[22:23], v[36:37]
	v_mul_f64 v[44:45], v[20:21], v[36:37]
	v_fma_f64 v[42:43], v[20:21], v[34:35], -v[42:43]
	v_fmac_f64_e32 v[44:45], v[22:23], v[34:35]
	global_load_dwordx4 v[32:35], v[32:33], off offset:1600
	ds_read_b128 v[20:23], v166 offset:9792
	ds_write_b128 v166, v[42:45] offset:6336
	s_waitcnt vmcnt(0) lgkmcnt(1)
	v_mul_f64 v[36:37], v[22:23], v[34:35]
	v_mul_f64 v[44:45], v[20:21], v[34:35]
	v_fma_f64 v[42:43], v[20:21], v[32:33], -v[36:37]
	v_fmac_f64_e32 v[44:45], v[22:23], v[32:33]
	global_load_dwordx4 v[30:33], v[30:31], off offset:960
	;; [unrolled: 8-line block ×8, first 2 shown]
	ds_read_b128 v[20:23], v166 offset:33984
	ds_write_b128 v166, v[28:31] offset:30528
	s_waitcnt vmcnt(0) lgkmcnt(1)
	v_mul_f64 v[28:29], v[22:23], v[26:27]
	v_mul_f64 v[30:31], v[20:21], v[26:27]
	v_fma_f64 v[28:29], v[20:21], v[24:25], -v[28:29]
	v_fmac_f64_e32 v[30:31], v[22:23], v[24:25]
	ds_write_b128 v166, v[28:31] offset:33984
.LBB0_9:
	s_or_b64 exec, exec, s[0:1]
	s_waitcnt lgkmcnt(0)
	; wave barrier
	s_waitcnt lgkmcnt(0)
	ds_read_b128 v[88:91], v166 offset:3456
	ds_read_b128 v[52:55], v166 offset:4416
	;; [unrolled: 1-line block ×28, first 2 shown]
	ds_read_b128 v[92:95], v166
	ds_read_b128 v[252:255], v166 offset:33024
	s_and_saveexec_b64 s[0:1], vcc
	s_cbranch_execz .LBB0_11
; %bb.10:
	ds_read_b128 v[220:223], v166 offset:6336
	ds_read_b128 v[224:227], v166 offset:9792
	;; [unrolled: 1-line block ×10, first 2 shown]
.LBB0_11:
	s_or_b64 exec, exec, s[0:1]
	s_waitcnt lgkmcnt(9)
	v_add_f64 v[130:131], v[116:117], v[120:121]
	s_mov_b32 s0, 0x134454ff
	s_waitcnt lgkmcnt(1)
	v_fma_f64 v[130:131], -0.5, v[130:131], v[92:93]
	v_add_f64 v[132:133], v[114:115], -v[126:127]
	s_mov_b32 s1, 0xbfee6f0e
	s_mov_b32 s8, 0x4755a5e
	;; [unrolled: 1-line block ×4, first 2 shown]
	v_fma_f64 v[134:135], s[0:1], v[132:133], v[130:131]
	v_add_f64 v[136:137], v[118:119], -v[122:123]
	s_mov_b32 s9, 0xbfe2cf23
	v_add_f64 v[138:139], v[112:113], -v[116:117]
	v_add_f64 v[140:141], v[124:125], -v[120:121]
	s_mov_b32 s10, 0x372fe950
	v_fmac_f64_e32 v[130:131], s[12:13], v[132:133]
	s_mov_b32 s15, 0x3fe2cf23
	s_mov_b32 s14, s8
	v_fmac_f64_e32 v[134:135], s[8:9], v[136:137]
	v_add_f64 v[138:139], v[138:139], v[140:141]
	s_mov_b32 s11, 0x3fd3c6ef
	v_fmac_f64_e32 v[130:131], s[14:15], v[136:137]
	v_fmac_f64_e32 v[134:135], s[10:11], v[138:139]
	;; [unrolled: 1-line block ×3, first 2 shown]
	v_add_f64 v[138:139], v[112:113], v[124:125]
	v_add_f64 v[128:129], v[92:93], v[112:113]
	v_fmac_f64_e32 v[92:93], -0.5, v[138:139]
	v_add_f64 v[128:129], v[128:129], v[116:117]
	v_fma_f64 v[138:139], s[12:13], v[136:137], v[92:93]
	v_add_f64 v[140:141], v[116:117], -v[112:113]
	v_add_f64 v[142:143], v[120:121], -v[124:125]
	v_fmac_f64_e32 v[92:93], s[0:1], v[136:137]
	v_add_f64 v[136:137], v[118:119], v[122:123]
	v_add_f64 v[128:129], v[128:129], v[120:121]
	v_fmac_f64_e32 v[138:139], s[8:9], v[132:133]
	v_add_f64 v[140:141], v[140:141], v[142:143]
	v_fmac_f64_e32 v[92:93], s[14:15], v[132:133]
	v_fma_f64 v[136:137], -0.5, v[136:137], v[94:95]
	v_add_f64 v[112:113], v[112:113], -v[124:125]
	v_add_f64 v[128:129], v[128:129], v[124:125]
	v_fmac_f64_e32 v[138:139], s[10:11], v[140:141]
	v_fmac_f64_e32 v[92:93], s[10:11], v[140:141]
	v_fma_f64 v[140:141], s[12:13], v[112:113], v[136:137]
	v_add_f64 v[116:117], v[116:117], -v[120:121]
	v_add_f64 v[120:121], v[114:115], -v[118:119]
	;; [unrolled: 1-line block ×3, first 2 shown]
	v_fmac_f64_e32 v[136:137], s[0:1], v[112:113]
	v_fmac_f64_e32 v[140:141], s[14:15], v[116:117]
	v_add_f64 v[120:121], v[120:121], v[124:125]
	v_fmac_f64_e32 v[136:137], s[8:9], v[116:117]
	v_fmac_f64_e32 v[140:141], s[10:11], v[120:121]
	;; [unrolled: 1-line block ×3, first 2 shown]
	v_add_f64 v[120:121], v[114:115], v[126:127]
	v_add_f64 v[132:133], v[94:95], v[114:115]
	v_fmac_f64_e32 v[94:95], -0.5, v[120:121]
	v_fma_f64 v[142:143], s[0:1], v[116:117], v[94:95]
	v_fmac_f64_e32 v[94:95], s[12:13], v[116:117]
	v_fmac_f64_e32 v[142:143], s[14:15], v[112:113]
	;; [unrolled: 1-line block ×3, first 2 shown]
	v_add_f64 v[112:113], v[88:89], v[96:97]
	v_add_f64 v[112:113], v[112:113], v[100:101]
	;; [unrolled: 1-line block ×3, first 2 shown]
	v_add_f64 v[114:115], v[118:119], -v[114:115]
	v_add_f64 v[118:119], v[122:123], -v[126:127]
	v_add_f64 v[112:113], v[112:113], v[104:105]
	v_add_f64 v[114:115], v[114:115], v[118:119]
	;; [unrolled: 1-line block ×4, first 2 shown]
	v_fmac_f64_e32 v[142:143], s[10:11], v[114:115]
	v_fmac_f64_e32 v[94:95], s[10:11], v[114:115]
	v_fma_f64 v[114:115], -0.5, v[112:113], v[88:89]
	v_add_f64 v[112:113], v[98:99], -v[110:111]
	v_add_f64 v[132:133], v[132:133], v[122:123]
	v_fma_f64 v[118:119], s[0:1], v[112:113], v[114:115]
	v_add_f64 v[120:121], v[102:103], -v[106:107]
	v_add_f64 v[122:123], v[96:97], -v[100:101]
	;; [unrolled: 1-line block ×3, first 2 shown]
	v_fmac_f64_e32 v[114:115], s[12:13], v[112:113]
	v_fmac_f64_e32 v[118:119], s[8:9], v[120:121]
	v_add_f64 v[122:123], v[122:123], v[124:125]
	v_fmac_f64_e32 v[114:115], s[14:15], v[120:121]
	v_fmac_f64_e32 v[118:119], s[10:11], v[122:123]
	;; [unrolled: 1-line block ×3, first 2 shown]
	v_add_f64 v[122:123], v[96:97], v[108:109]
	v_fmac_f64_e32 v[88:89], -0.5, v[122:123]
	v_fma_f64 v[122:123], s[12:13], v[120:121], v[88:89]
	v_fmac_f64_e32 v[88:89], s[0:1], v[120:121]
	v_fmac_f64_e32 v[122:123], s[8:9], v[112:113]
	;; [unrolled: 1-line block ×3, first 2 shown]
	v_add_f64 v[112:113], v[90:91], v[98:99]
	v_add_f64 v[112:113], v[112:113], v[102:103]
	;; [unrolled: 1-line block ×3, first 2 shown]
	v_add_f64 v[124:125], v[100:101], -v[96:97]
	v_add_f64 v[126:127], v[104:105], -v[108:109]
	v_add_f64 v[112:113], v[112:113], v[106:107]
	v_add_f64 v[124:125], v[124:125], v[126:127]
	;; [unrolled: 1-line block ×4, first 2 shown]
	v_fma_f64 v[120:121], -0.5, v[112:113], v[90:91]
	v_add_f64 v[96:97], v[96:97], -v[108:109]
	v_fmac_f64_e32 v[122:123], s[10:11], v[124:125]
	v_fmac_f64_e32 v[88:89], s[10:11], v[124:125]
	v_fma_f64 v[124:125], s[12:13], v[96:97], v[120:121]
	v_add_f64 v[100:101], v[100:101], -v[104:105]
	v_add_f64 v[104:105], v[98:99], -v[102:103]
	;; [unrolled: 1-line block ×3, first 2 shown]
	v_fmac_f64_e32 v[120:121], s[0:1], v[96:97]
	v_fmac_f64_e32 v[124:125], s[14:15], v[100:101]
	v_add_f64 v[104:105], v[104:105], v[108:109]
	v_fmac_f64_e32 v[120:121], s[8:9], v[100:101]
	v_fmac_f64_e32 v[124:125], s[10:11], v[104:105]
	v_fmac_f64_e32 v[120:121], s[10:11], v[104:105]
	v_add_f64 v[104:105], v[98:99], v[110:111]
	v_fmac_f64_e32 v[90:91], -0.5, v[104:105]
	v_fma_f64 v[144:145], s[0:1], v[100:101], v[90:91]
	v_add_f64 v[98:99], v[102:103], -v[98:99]
	v_add_f64 v[102:103], v[106:107], -v[110:111]
	v_fmac_f64_e32 v[90:91], s[12:13], v[100:101]
	v_add_f64 v[98:99], v[98:99], v[102:103]
	v_fmac_f64_e32 v[90:91], s[8:9], v[96:97]
	s_mov_b32 s16, 0x9b97f4a8
	v_fmac_f64_e32 v[144:145], s[14:15], v[96:97]
	v_fmac_f64_e32 v[90:91], s[10:11], v[98:99]
	s_mov_b32 s17, 0x3fe9e377
	s_mov_b32 s19, 0xbfd3c6ef
	;; [unrolled: 1-line block ×3, first 2 shown]
	v_mul_f64 v[152:153], v[120:121], s[8:9]
	s_mov_b32 s21, 0xbfe9e377
	s_mov_b32 s20, s16
	v_fmac_f64_e32 v[144:145], s[10:11], v[98:99]
	v_mul_f64 v[146:147], v[124:125], s[8:9]
	v_mul_f64 v[150:151], v[90:91], s[0:1]
	v_fmac_f64_e32 v[152:153], s[20:21], v[114:115]
	v_mul_f64 v[90:91], v[90:91], s[18:19]
	v_fmac_f64_e32 v[146:147], s[16:17], v[118:119]
	;; [unrolled: 2-line block ×3, first 2 shown]
	v_add_f64 v[112:113], v[130:131], v[152:153]
	v_mul_f64 v[118:119], v[118:119], s[14:15]
	v_fmac_f64_e32 v[90:91], s[12:13], v[88:89]
	v_mul_f64 v[154:155], v[120:121], s[20:21]
	v_add_f64 v[88:89], v[130:131], -v[152:153]
	v_add_f64 v[130:131], v[76:77], v[80:81]
	v_fmac_f64_e32 v[148:149], s[10:11], v[122:123]
	v_add_f64 v[98:99], v[132:133], v[126:127]
	v_fmac_f64_e32 v[118:119], s[16:17], v[124:125]
	v_mul_f64 v[144:145], v[144:145], s[10:11]
	v_fmac_f64_e32 v[154:155], s[14:15], v[114:115]
	v_add_f64 v[126:127], v[132:133], -v[126:127]
	v_fma_f64 v[130:131], -0.5, v[130:131], v[48:49]
	v_add_f64 v[132:133], v[74:75], -v[86:87]
	v_add_f64 v[96:97], v[128:129], v[116:117]
	v_add_f64 v[100:101], v[134:135], v[146:147]
	;; [unrolled: 1-line block ×4, first 2 shown]
	v_fmac_f64_e32 v[144:145], s[12:13], v[122:123]
	v_add_f64 v[110:111], v[94:95], v[90:91]
	v_add_f64 v[114:115], v[136:137], v[154:155]
	v_add_f64 v[124:125], v[128:129], -v[116:117]
	v_add_f64 v[120:121], v[134:135], -v[146:147]
	;; [unrolled: 1-line block ×6, first 2 shown]
	v_fma_f64 v[134:135], s[0:1], v[132:133], v[130:131]
	v_add_f64 v[136:137], v[78:79], -v[82:83]
	v_add_f64 v[138:139], v[72:73], -v[76:77]
	;; [unrolled: 1-line block ×3, first 2 shown]
	v_fmac_f64_e32 v[130:131], s[12:13], v[132:133]
	v_fmac_f64_e32 v[134:135], s[8:9], v[136:137]
	v_add_f64 v[138:139], v[138:139], v[140:141]
	v_fmac_f64_e32 v[130:131], s[14:15], v[136:137]
	v_fmac_f64_e32 v[134:135], s[10:11], v[138:139]
	;; [unrolled: 1-line block ×3, first 2 shown]
	v_add_f64 v[138:139], v[72:73], v[84:85]
	v_add_f64 v[128:129], v[48:49], v[72:73]
	v_fmac_f64_e32 v[48:49], -0.5, v[138:139]
	v_add_f64 v[106:107], v[142:143], v[144:145]
	v_add_f64 v[118:119], v[142:143], -v[144:145]
	v_add_f64 v[128:129], v[128:129], v[76:77]
	v_fma_f64 v[138:139], s[12:13], v[136:137], v[48:49]
	v_add_f64 v[140:141], v[76:77], -v[72:73]
	v_add_f64 v[142:143], v[80:81], -v[84:85]
	v_fmac_f64_e32 v[48:49], s[0:1], v[136:137]
	v_add_f64 v[136:137], v[78:79], v[82:83]
	v_add_f64 v[128:129], v[128:129], v[80:81]
	v_fmac_f64_e32 v[138:139], s[8:9], v[132:133]
	v_add_f64 v[140:141], v[140:141], v[142:143]
	v_fmac_f64_e32 v[48:49], s[14:15], v[132:133]
	v_fma_f64 v[136:137], -0.5, v[136:137], v[50:51]
	v_add_f64 v[72:73], v[72:73], -v[84:85]
	v_add_f64 v[128:129], v[128:129], v[84:85]
	v_fmac_f64_e32 v[138:139], s[10:11], v[140:141]
	v_fmac_f64_e32 v[48:49], s[10:11], v[140:141]
	v_fma_f64 v[140:141], s[12:13], v[72:73], v[136:137]
	v_add_f64 v[76:77], v[76:77], -v[80:81]
	v_add_f64 v[80:81], v[74:75], -v[78:79]
	;; [unrolled: 1-line block ×3, first 2 shown]
	v_fmac_f64_e32 v[136:137], s[0:1], v[72:73]
	v_fmac_f64_e32 v[140:141], s[14:15], v[76:77]
	v_add_f64 v[80:81], v[80:81], v[84:85]
	v_fmac_f64_e32 v[136:137], s[8:9], v[76:77]
	v_fmac_f64_e32 v[140:141], s[10:11], v[80:81]
	;; [unrolled: 1-line block ×3, first 2 shown]
	v_add_f64 v[80:81], v[74:75], v[86:87]
	v_add_f64 v[132:133], v[50:51], v[74:75]
	v_fmac_f64_e32 v[50:51], -0.5, v[80:81]
	v_fma_f64 v[142:143], s[0:1], v[76:77], v[50:51]
	v_fmac_f64_e32 v[50:51], s[12:13], v[76:77]
	v_fmac_f64_e32 v[142:143], s[14:15], v[72:73]
	;; [unrolled: 1-line block ×3, first 2 shown]
	v_add_f64 v[72:73], v[52:53], v[56:57]
	v_add_f64 v[72:73], v[72:73], v[60:61]
	v_add_f64 v[132:133], v[132:133], v[78:79]
	v_add_f64 v[74:75], v[78:79], -v[74:75]
	v_add_f64 v[78:79], v[82:83], -v[86:87]
	v_add_f64 v[72:73], v[72:73], v[64:65]
	v_add_f64 v[74:75], v[74:75], v[78:79]
	;; [unrolled: 1-line block ×4, first 2 shown]
	v_fmac_f64_e32 v[142:143], s[10:11], v[74:75]
	v_fmac_f64_e32 v[50:51], s[10:11], v[74:75]
	v_fma_f64 v[74:75], -0.5, v[72:73], v[52:53]
	v_add_f64 v[72:73], v[58:59], -v[70:71]
	v_add_f64 v[132:133], v[132:133], v[82:83]
	v_fma_f64 v[78:79], s[0:1], v[72:73], v[74:75]
	v_add_f64 v[80:81], v[62:63], -v[66:67]
	v_add_f64 v[82:83], v[56:57], -v[60:61]
	;; [unrolled: 1-line block ×3, first 2 shown]
	v_fmac_f64_e32 v[74:75], s[12:13], v[72:73]
	v_fmac_f64_e32 v[78:79], s[8:9], v[80:81]
	v_add_f64 v[82:83], v[82:83], v[84:85]
	v_fmac_f64_e32 v[74:75], s[14:15], v[80:81]
	v_fmac_f64_e32 v[78:79], s[10:11], v[82:83]
	;; [unrolled: 1-line block ×3, first 2 shown]
	v_add_f64 v[82:83], v[56:57], v[68:69]
	v_fmac_f64_e32 v[52:53], -0.5, v[82:83]
	v_fma_f64 v[82:83], s[12:13], v[80:81], v[52:53]
	v_fmac_f64_e32 v[52:53], s[0:1], v[80:81]
	v_fmac_f64_e32 v[82:83], s[8:9], v[72:73]
	;; [unrolled: 1-line block ×3, first 2 shown]
	v_add_f64 v[72:73], v[54:55], v[58:59]
	v_add_f64 v[72:73], v[72:73], v[62:63]
	;; [unrolled: 1-line block ×3, first 2 shown]
	v_add_f64 v[84:85], v[60:61], -v[56:57]
	v_add_f64 v[86:87], v[64:65], -v[68:69]
	v_add_f64 v[72:73], v[72:73], v[66:67]
	v_add_f64 v[84:85], v[84:85], v[86:87]
	;; [unrolled: 1-line block ×4, first 2 shown]
	v_fma_f64 v[80:81], -0.5, v[72:73], v[54:55]
	v_add_f64 v[56:57], v[56:57], -v[68:69]
	v_fmac_f64_e32 v[82:83], s[10:11], v[84:85]
	v_fmac_f64_e32 v[52:53], s[10:11], v[84:85]
	v_fma_f64 v[84:85], s[12:13], v[56:57], v[80:81]
	v_add_f64 v[60:61], v[60:61], -v[64:65]
	v_add_f64 v[64:65], v[58:59], -v[62:63]
	v_add_f64 v[68:69], v[70:71], -v[66:67]
	v_fmac_f64_e32 v[80:81], s[0:1], v[56:57]
	v_fmac_f64_e32 v[84:85], s[14:15], v[60:61]
	v_add_f64 v[64:65], v[64:65], v[68:69]
	v_fmac_f64_e32 v[80:81], s[8:9], v[60:61]
	v_fmac_f64_e32 v[84:85], s[10:11], v[64:65]
	;; [unrolled: 1-line block ×3, first 2 shown]
	v_add_f64 v[64:65], v[58:59], v[70:71]
	v_fmac_f64_e32 v[54:55], -0.5, v[64:65]
	v_fma_f64 v[144:145], s[0:1], v[60:61], v[54:55]
	v_add_f64 v[58:59], v[62:63], -v[58:59]
	v_add_f64 v[62:63], v[66:67], -v[70:71]
	v_fmac_f64_e32 v[54:55], s[12:13], v[60:61]
	v_add_f64 v[58:59], v[58:59], v[62:63]
	v_fmac_f64_e32 v[54:55], s[8:9], v[56:57]
	v_fmac_f64_e32 v[54:55], s[10:11], v[58:59]
	v_add_f64 v[108:109], v[92:93], v[150:151]
	v_add_f64 v[92:93], v[92:93], -v[150:151]
	v_fmac_f64_e32 v[144:145], s[14:15], v[56:57]
	v_mul_f64 v[150:151], v[54:55], s[0:1]
	v_mul_f64 v[152:153], v[80:81], s[8:9]
	v_fmac_f64_e32 v[144:145], s[10:11], v[58:59]
	v_mul_f64 v[146:147], v[84:85], s[8:9]
	v_fmac_f64_e32 v[150:151], s[18:19], v[52:53]
	v_fmac_f64_e32 v[152:153], s[20:21], v[74:75]
	v_mul_f64 v[54:55], v[54:55], s[18:19]
	v_fmac_f64_e32 v[146:147], s[16:17], v[78:79]
	v_mul_f64 v[148:149], v[144:145], s[0:1]
	v_add_f64 v[68:69], v[48:49], v[150:151]
	v_add_f64 v[72:73], v[130:131], v[152:153]
	v_mul_f64 v[78:79], v[78:79], s[14:15]
	v_fmac_f64_e32 v[54:55], s[12:13], v[52:53]
	v_mul_f64 v[154:155], v[80:81], s[20:21]
	v_add_f64 v[52:53], v[48:49], -v[150:151]
	v_add_f64 v[48:49], v[130:131], -v[152:153]
	v_add_f64 v[130:131], v[36:37], v[40:41]
	v_fmac_f64_e32 v[148:149], s[10:11], v[82:83]
	v_add_f64 v[58:59], v[132:133], v[86:87]
	v_fmac_f64_e32 v[78:79], s[16:17], v[84:85]
	v_mul_f64 v[144:145], v[144:145], s[10:11]
	v_fmac_f64_e32 v[154:155], s[14:15], v[74:75]
	v_add_f64 v[86:87], v[132:133], -v[86:87]
	v_fma_f64 v[130:131], -0.5, v[130:131], v[20:21]
	v_add_f64 v[132:133], v[34:35], -v[46:47]
	v_add_f64 v[56:57], v[128:129], v[76:77]
	v_add_f64 v[60:61], v[134:135], v[146:147]
	;; [unrolled: 1-line block ×4, first 2 shown]
	v_fmac_f64_e32 v[144:145], s[12:13], v[82:83]
	v_add_f64 v[70:71], v[50:51], v[54:55]
	v_add_f64 v[74:75], v[136:137], v[154:155]
	v_add_f64 v[84:85], v[128:129], -v[76:77]
	v_add_f64 v[80:81], v[134:135], -v[146:147]
	;; [unrolled: 1-line block ×6, first 2 shown]
	v_fma_f64 v[134:135], s[0:1], v[132:133], v[130:131]
	v_add_f64 v[136:137], v[38:39], -v[42:43]
	v_add_f64 v[138:139], v[32:33], -v[36:37]
	;; [unrolled: 1-line block ×3, first 2 shown]
	v_fmac_f64_e32 v[130:131], s[12:13], v[132:133]
	v_fmac_f64_e32 v[134:135], s[8:9], v[136:137]
	v_add_f64 v[138:139], v[138:139], v[140:141]
	v_fmac_f64_e32 v[130:131], s[14:15], v[136:137]
	v_fmac_f64_e32 v[134:135], s[10:11], v[138:139]
	;; [unrolled: 1-line block ×3, first 2 shown]
	v_add_f64 v[138:139], v[32:33], v[44:45]
	v_add_f64 v[128:129], v[20:21], v[32:33]
	v_fmac_f64_e32 v[20:21], -0.5, v[138:139]
	v_fma_f64 v[138:139], s[12:13], v[136:137], v[20:21]
	v_fmac_f64_e32 v[20:21], s[0:1], v[136:137]
	v_fmac_f64_e32 v[138:139], s[8:9], v[132:133]
	;; [unrolled: 1-line block ×3, first 2 shown]
	v_add_f64 v[132:133], v[22:23], v[34:35]
	v_add_f64 v[66:67], v[142:143], v[144:145]
	v_add_f64 v[78:79], v[142:143], -v[144:145]
	v_add_f64 v[140:141], v[36:37], -v[32:33]
	;; [unrolled: 1-line block ×3, first 2 shown]
	v_add_f64 v[132:133], v[132:133], v[38:39]
	v_add_f64 v[140:141], v[140:141], v[142:143]
	;; [unrolled: 1-line block ×4, first 2 shown]
	v_fmac_f64_e32 v[138:139], s[10:11], v[140:141]
	v_fmac_f64_e32 v[20:21], s[10:11], v[140:141]
	v_add_f64 v[140:141], v[132:133], v[46:47]
	v_add_f64 v[132:133], v[38:39], v[42:43]
	;; [unrolled: 1-line block ×3, first 2 shown]
	v_fma_f64 v[142:143], -0.5, v[132:133], v[22:23]
	v_add_f64 v[32:33], v[32:33], -v[44:45]
	v_add_f64 v[128:129], v[128:129], v[44:45]
	v_fma_f64 v[144:145], s[12:13], v[32:33], v[142:143]
	v_add_f64 v[36:37], v[36:37], -v[40:41]
	v_add_f64 v[40:41], v[34:35], -v[38:39]
	;; [unrolled: 1-line block ×3, first 2 shown]
	v_fmac_f64_e32 v[142:143], s[0:1], v[32:33]
	v_fmac_f64_e32 v[144:145], s[14:15], v[36:37]
	v_add_f64 v[40:41], v[40:41], v[44:45]
	v_fmac_f64_e32 v[142:143], s[8:9], v[36:37]
	v_fmac_f64_e32 v[144:145], s[10:11], v[40:41]
	;; [unrolled: 1-line block ×3, first 2 shown]
	v_add_f64 v[40:41], v[34:35], v[46:47]
	v_fmac_f64_e32 v[22:23], -0.5, v[40:41]
	v_fma_f64 v[146:147], s[0:1], v[36:37], v[22:23]
	v_fmac_f64_e32 v[22:23], s[12:13], v[36:37]
	v_fmac_f64_e32 v[146:147], s[14:15], v[32:33]
	v_fmac_f64_e32 v[22:23], s[8:9], v[32:33]
	v_add_f64 v[32:33], v[24:25], v[28:29]
	v_add_f64 v[32:33], v[32:33], v[244:245]
	v_add_f64 v[32:33], v[32:33], v[248:249]
	v_add_f64 v[34:35], v[38:39], -v[34:35]
	v_add_f64 v[38:39], v[42:43], -v[46:47]
	s_waitcnt lgkmcnt(0)
	v_add_f64 v[132:133], v[32:33], v[252:253]
	v_add_f64 v[32:33], v[244:245], v[248:249]
	v_add_f64 v[34:35], v[34:35], v[38:39]
	v_fma_f64 v[46:47], -0.5, v[32:33], v[24:25]
	v_add_f64 v[32:33], v[30:31], -v[254:255]
	v_fmac_f64_e32 v[146:147], s[10:11], v[34:35]
	v_fmac_f64_e32 v[22:23], s[10:11], v[34:35]
	v_fma_f64 v[34:35], s[0:1], v[32:33], v[46:47]
	v_add_f64 v[36:37], v[246:247], -v[250:251]
	v_add_f64 v[38:39], v[28:29], -v[244:245]
	v_add_f64 v[40:41], v[252:253], -v[248:249]
	v_fmac_f64_e32 v[46:47], s[12:13], v[32:33]
	v_fmac_f64_e32 v[34:35], s[8:9], v[36:37]
	v_add_f64 v[38:39], v[38:39], v[40:41]
	v_fmac_f64_e32 v[46:47], s[14:15], v[36:37]
	v_fmac_f64_e32 v[34:35], s[10:11], v[38:39]
	;; [unrolled: 1-line block ×3, first 2 shown]
	v_add_f64 v[38:39], v[28:29], v[252:253]
	v_fmac_f64_e32 v[24:25], -0.5, v[38:39]
	v_fma_f64 v[38:39], s[12:13], v[36:37], v[24:25]
	v_fmac_f64_e32 v[24:25], s[0:1], v[36:37]
	v_fmac_f64_e32 v[38:39], s[8:9], v[32:33]
	;; [unrolled: 1-line block ×3, first 2 shown]
	v_add_f64 v[32:33], v[26:27], v[30:31]
	v_add_f64 v[32:33], v[32:33], v[246:247]
	;; [unrolled: 1-line block ×3, first 2 shown]
	v_add_f64 v[40:41], v[244:245], -v[28:29]
	v_add_f64 v[42:43], v[248:249], -v[252:253]
	v_add_f64 v[148:149], v[32:33], v[254:255]
	v_add_f64 v[32:33], v[246:247], v[250:251]
	;; [unrolled: 1-line block ×3, first 2 shown]
	v_fma_f64 v[136:137], -0.5, v[32:33], v[26:27]
	v_add_f64 v[28:29], v[28:29], -v[252:253]
	v_fmac_f64_e32 v[38:39], s[10:11], v[40:41]
	v_fmac_f64_e32 v[24:25], s[10:11], v[40:41]
	v_fma_f64 v[42:43], s[12:13], v[28:29], v[136:137]
	v_add_f64 v[32:33], v[244:245], -v[248:249]
	v_add_f64 v[36:37], v[30:31], -v[246:247]
	;; [unrolled: 1-line block ×3, first 2 shown]
	v_fmac_f64_e32 v[136:137], s[0:1], v[28:29]
	v_fmac_f64_e32 v[42:43], s[14:15], v[32:33]
	v_add_f64 v[36:37], v[36:37], v[40:41]
	v_fmac_f64_e32 v[136:137], s[8:9], v[32:33]
	v_fmac_f64_e32 v[42:43], s[10:11], v[36:37]
	;; [unrolled: 1-line block ×3, first 2 shown]
	v_add_f64 v[36:37], v[30:31], v[254:255]
	v_fmac_f64_e32 v[26:27], -0.5, v[36:37]
	v_fma_f64 v[150:151], s[0:1], v[32:33], v[26:27]
	v_add_f64 v[30:31], v[246:247], -v[30:31]
	v_add_f64 v[36:37], v[250:251], -v[254:255]
	v_fmac_f64_e32 v[26:27], s[12:13], v[32:33]
	v_add_f64 v[30:31], v[30:31], v[36:37]
	v_fmac_f64_e32 v[26:27], s[8:9], v[28:29]
	v_fmac_f64_e32 v[150:151], s[14:15], v[28:29]
	;; [unrolled: 1-line block ×4, first 2 shown]
	v_mul_f64 v[156:157], v[26:27], s[0:1]
	v_add_f64 v[30:31], v[140:141], v[148:149]
	v_mul_f64 v[162:163], v[26:27], s[18:19]
	v_add_f64 v[26:27], v[140:141], -v[148:149]
	s_waitcnt lgkmcnt(0)
	; wave barrier
	scratch_load_dword v140, off, off offset:40 ; 4-byte Folded Reload
	s_waitcnt vmcnt(0)
	ds_write_b128 v140, v[96:99]
	ds_write_b128 v140, v[100:103] offset:16
	ds_write_b128 v140, v[104:107] offset:32
	;; [unrolled: 1-line block ×9, first 2 shown]
	scratch_load_dword v88, off, off offset:44 ; 4-byte Folded Reload
	v_mul_f64 v[152:153], v[42:43], s[8:9]
	v_mul_f64 v[154:155], v[150:151], s[0:1]
	;; [unrolled: 1-line block ×6, first 2 shown]
	v_fmac_f64_e32 v[152:153], s[16:17], v[34:35]
	v_fmac_f64_e32 v[154:155], s[10:11], v[38:39]
	;; [unrolled: 1-line block ×8, first 2 shown]
	v_add_f64 v[28:29], v[128:129], v[132:133]
	v_add_f64 v[32:33], v[134:135], v[152:153]
	;; [unrolled: 1-line block ×9, first 2 shown]
	v_add_f64 v[24:25], v[128:129], -v[132:133]
	v_add_f64 v[128:129], v[134:135], -v[152:153]
	;; [unrolled: 1-line block ×9, first 2 shown]
	s_waitcnt vmcnt(0)
	ds_write_b128 v88, v[56:59]
	ds_write_b128 v88, v[60:63] offset:16
	ds_write_b128 v88, v[64:67] offset:32
	;; [unrolled: 1-line block ×9, first 2 shown]
	ds_write_b128 v167, v[28:31]
	ds_write_b128 v167, v[32:35] offset:16
	ds_write_b128 v167, v[36:39] offset:32
	;; [unrolled: 1-line block ×9, first 2 shown]
	s_and_saveexec_b64 s[22:23], vcc
	s_cbranch_execz .LBB0_13
; %bb.12:
	v_accvgpr_read_b32 v86, a124
	v_accvgpr_read_b32 v94, a132
	;; [unrolled: 1-line block ×6, first 2 shown]
	v_add_f64 v[20:21], v[226:227], -v[238:239]
	v_add_f64 v[22:23], v[96:97], -v[88:89]
	v_accvgpr_read_b32 v90, a128
	v_accvgpr_read_b32 v98, a136
	v_add_f64 v[20:21], v[20:21], v[22:23]
	v_add_f64 v[22:23], v[238:239], v[88:89]
	v_accvgpr_read_b32 v91, a129
	v_accvgpr_read_b32 v99, a137
	v_accvgpr_read_b32 v95, a133
	v_fma_f64 v[40:41], -0.5, v[22:23], v[234:235]
	v_add_f64 v[22:23], v[228:229], -v[240:241]
	v_add_f64 v[26:27], v[98:99], -v[90:91]
	v_accvgpr_read_b32 v87, a125
	v_add_f64 v[24:25], v[224:225], -v[94:95]
	v_accvgpr_read_b32 v92, a130
	v_accvgpr_read_b32 v93, a131
	;; [unrolled: 1-line block ×4, first 2 shown]
	v_add_f64 v[32:33], v[22:23], v[26:27]
	v_add_f64 v[22:23], v[240:241], v[90:91]
	v_fma_f64 v[42:43], s[0:1], v[24:25], v[40:41]
	v_add_f64 v[28:29], v[236:237], -v[86:87]
	v_fma_f64 v[36:37], -0.5, v[22:23], v[220:221]
	v_add_f64 v[22:23], v[230:231], -v[242:243]
	v_add_f64 v[26:27], v[100:101], -v[92:93]
	v_fmac_f64_e32 v[40:41], s[12:13], v[24:25]
	v_fmac_f64_e32 v[42:43], s[8:9], v[28:29]
	v_add_f64 v[46:47], v[22:23], v[26:27]
	v_add_f64 v[26:27], v[238:239], -v[226:227]
	v_add_f64 v[30:31], v[88:89], -v[96:97]
	v_fmac_f64_e32 v[40:41], s[14:15], v[28:29]
	v_fmac_f64_e32 v[42:43], s[10:11], v[20:21]
	v_add_f64 v[30:31], v[26:27], v[30:31]
	v_add_f64 v[26:27], v[226:227], v[96:97]
	v_fmac_f64_e32 v[40:41], s[10:11], v[20:21]
	v_add_f64 v[20:21], v[234:235], v[226:227]
	v_fma_f64 v[58:59], -0.5, v[26:27], v[234:235]
	v_add_f64 v[26:27], v[240:241], -v[228:229]
	v_add_f64 v[62:63], v[90:91], -v[98:99]
	v_add_f64 v[20:21], v[20:21], v[238:239]
	v_add_f64 v[62:63], v[26:27], v[62:63]
	;; [unrolled: 1-line block ×4, first 2 shown]
	v_fma_f64 v[64:65], -0.5, v[26:27], v[220:221]
	v_add_f64 v[26:27], v[242:243], -v[230:231]
	v_add_f64 v[68:69], v[92:93], -v[100:101]
	v_add_f64 v[76:77], v[20:21], v[96:97]
	v_add_f64 v[20:21], v[222:223], v[230:231]
	v_add_f64 v[34:35], v[230:231], -v[100:101]
	v_add_f64 v[22:23], v[242:243], v[92:93]
	v_add_f64 v[68:69], v[26:27], v[68:69]
	;; [unrolled: 1-line block ×4, first 2 shown]
	v_fma_f64 v[44:45], s[12:13], v[34:35], v[36:37]
	v_add_f64 v[38:39], v[242:243], -v[92:93]
	v_fma_f64 v[48:49], -0.5, v[22:23], v[222:223]
	v_add_f64 v[50:51], v[228:229], -v[98:99]
	v_add_f64 v[54:55], v[240:241], -v[90:91]
	v_fma_f64 v[60:61], s[12:13], v[28:29], v[58:59]
	v_fma_f64 v[70:71], -0.5, v[26:27], v[222:223]
	v_fmac_f64_e32 v[58:59], s[0:1], v[28:29]
	v_fmac_f64_e32 v[36:37], s[0:1], v[34:35]
	v_add_f64 v[20:21], v[20:21], v[92:93]
	v_fmac_f64_e32 v[44:45], s[14:15], v[38:39]
	v_fma_f64 v[52:53], s[0:1], v[50:51], v[48:49]
	v_fmac_f64_e32 v[60:61], s[8:9], v[24:25]
	v_fma_f64 v[72:73], s[12:13], v[54:55], v[70:71]
	v_fmac_f64_e32 v[58:59], s[14:15], v[24:25]
	v_fmac_f64_e32 v[36:37], s[8:9], v[38:39]
	v_add_f64 v[78:79], v[20:21], v[100:101]
	v_add_f64 v[20:21], v[224:225], -v[236:237]
	v_add_f64 v[24:25], v[94:95], -v[86:87]
	v_fmac_f64_e32 v[44:45], s[10:11], v[32:33]
	v_fmac_f64_e32 v[52:53], s[8:9], v[54:55]
	v_fma_f64 v[66:67], s[0:1], v[38:39], v[64:65]
	v_fmac_f64_e32 v[72:73], s[8:9], v[50:51]
	v_fmac_f64_e32 v[36:37], s[10:11], v[32:33]
	v_add_f64 v[32:33], v[20:21], v[24:25]
	v_add_f64 v[24:25], v[236:237], -v[224:225]
	v_add_f64 v[28:29], v[86:87], -v[94:95]
	v_fmac_f64_e32 v[52:53], s[10:11], v[46:47]
	v_fmac_f64_e32 v[66:67], s[14:15], v[34:35]
	;; [unrolled: 1-line block ×5, first 2 shown]
	v_add_f64 v[28:29], v[24:25], v[28:29]
	v_add_f64 v[24:25], v[224:225], v[94:95]
	v_mul_f64 v[56:57], v[52:53], s[20:21]
	v_fmac_f64_e32 v[66:67], s[10:11], v[62:63]
	v_mul_f64 v[74:75], v[72:73], s[18:19]
	v_fmac_f64_e32 v[70:71], s[14:15], v[50:51]
	v_fmac_f64_e32 v[48:49], s[14:15], v[54:55]
	v_add_f64 v[20:21], v[236:237], v[86:87]
	v_add_f64 v[50:51], v[238:239], -v[88:89]
	v_mul_f64 v[52:53], v[52:53], s[8:9]
	v_fma_f64 v[84:85], -0.5, v[24:25], v[232:233]
	v_fmac_f64_e32 v[56:57], s[14:15], v[44:45]
	v_fmac_f64_e32 v[60:61], s[10:11], v[30:31]
	v_fmac_f64_e32 v[74:75], s[12:13], v[66:67]
	v_fmac_f64_e32 v[48:49], s[10:11], v[46:47]
	v_fma_f64 v[80:81], -0.5, v[20:21], v[232:233]
	v_add_f64 v[46:47], v[226:227], -v[96:97]
	v_fmac_f64_e32 v[52:53], s[20:21], v[44:45]
	v_fma_f64 v[44:45], s[0:1], v[50:51], v[84:85]
	v_fmac_f64_e32 v[84:85], s[12:13], v[50:51]
	v_add_f64 v[26:27], v[60:61], -v[74:75]
	v_fma_f64 v[82:83], s[12:13], v[46:47], v[80:81]
	v_fmac_f64_e32 v[44:45], s[14:15], v[46:47]
	v_fmac_f64_e32 v[84:85], s[8:9], v[46:47]
	;; [unrolled: 1-line block ×3, first 2 shown]
	v_add_f64 v[46:47], v[60:61], v[74:75]
	scratch_load_dword v60, off, off offset:776 ; 4-byte Folded Reload
	v_fmac_f64_e32 v[64:65], s[12:13], v[38:39]
	v_fmac_f64_e32 v[64:65], s[8:9], v[34:35]
	v_fmac_f64_e32 v[70:71], s[10:11], v[68:69]
	v_mul_f64 v[72:73], v[72:73], s[0:1]
	v_fmac_f64_e32 v[64:65], s[10:11], v[62:63]
	v_mul_f64 v[62:63], v[70:71], s[10:11]
	v_fmac_f64_e32 v[72:73], s[18:19], v[66:67]
	;; [unrolled: 2-line block ×3, first 2 shown]
	v_fmac_f64_e32 v[66:67], s[10:11], v[64:65]
	v_mul_f64 v[64:65], v[48:49], s[8:9]
	v_mul_f64 v[68:69], v[36:37], s[14:15]
	v_fmac_f64_e32 v[64:65], s[16:17], v[36:37]
	v_add_f64 v[36:37], v[232:233], v[224:225]
	v_add_f64 v[36:37], v[36:37], v[236:237]
	;; [unrolled: 1-line block ×7, first 2 shown]
	v_fmac_f64_e32 v[58:59], s[10:11], v[30:31]
	v_fmac_f64_e32 v[82:83], s[14:15], v[50:51]
	;; [unrolled: 1-line block ×3, first 2 shown]
	v_add_f64 v[86:87], v[36:37], v[98:99]
	v_add_f64 v[22:23], v[42:43], -v[56:57]
	v_add_f64 v[30:31], v[58:59], -v[62:63]
	v_fmac_f64_e32 v[68:69], s[16:17], v[48:49]
	v_fmac_f64_e32 v[82:83], s[10:11], v[32:33]
	;; [unrolled: 1-line block ×5, first 2 shown]
	v_add_f64 v[42:43], v[42:43], v[56:57]
	v_add_f64 v[50:51], v[58:59], v[62:63]
	;; [unrolled: 1-line block ×4, first 2 shown]
	v_add_f64 v[34:35], v[40:41], -v[68:69]
	v_add_f64 v[38:39], v[76:77], -v[78:79]
	;; [unrolled: 1-line block ×7, first 2 shown]
	v_add_f64 v[54:55], v[40:41], v[68:69]
	v_add_f64 v[40:41], v[82:83], v[52:53]
	;; [unrolled: 1-line block ×5, first 2 shown]
	s_waitcnt vmcnt(0)
	v_lshlrev_b32_e32 v60, 4, v60
	ds_write_b128 v60, v[56:59]
	ds_write_b128 v60, v[52:55] offset:16
	ds_write_b128 v60, v[48:51] offset:32
	;; [unrolled: 1-line block ×9, first 2 shown]
.LBB0_13:
	s_or_b64 exec, exec, s[22:23]
	s_waitcnt lgkmcnt(0)
	; wave barrier
	s_waitcnt lgkmcnt(0)
	ds_read_b128 v[24:27], v166 offset:5760
	ds_read_b128 v[20:23], v166 offset:4800
	scratch_load_dwordx4 v[30:33], off, off offset:584 ; 16-byte Folded Reload
	v_accvgpr_read_b32 v78, a208
	v_accvgpr_read_b32 v80, a210
	;; [unrolled: 1-line block ×8, first 2 shown]
	s_mov_b32 s0, 0xe8584caa
	s_mov_b32 s1, 0xbfebb67a
	;; [unrolled: 1-line block ×4, first 2 shown]
	s_mul_i32 s10, s5, 0x1b00
	s_waitcnt vmcnt(0) lgkmcnt(1)
	v_mul_f64 v[28:29], v[32:33], v[26:27]
	v_fmac_f64_e32 v[28:29], v[30:31], v[24:25]
	v_mul_f64 v[24:25], v[32:33], v[24:25]
	v_fma_f64 v[24:25], v[30:31], v[26:27], -v[24:25]
	ds_read_b128 v[30:33], v166 offset:11520
	ds_read_b128 v[66:69], v166 offset:10560
	scratch_load_dwordx4 v[34:37], off, off offset:568 ; 16-byte Folded Reload
	s_waitcnt vmcnt(0) lgkmcnt(1)
	v_mul_f64 v[26:27], v[36:37], v[32:33]
	v_fmac_f64_e32 v[26:27], v[34:35], v[30:31]
	v_mul_f64 v[30:31], v[36:37], v[30:31]
	v_fma_f64 v[132:133], v[34:35], v[32:33], -v[30:31]
	ds_read_b128 v[30:33], v166 offset:17280
	ds_read_b128 v[70:73], v166 offset:16320
	scratch_load_dwordx4 v[34:37], off, off offset:552 ; 16-byte Folded Reload
	;; [unrolled: 8-line block ×5, first 2 shown]
	s_waitcnt vmcnt(0) lgkmcnt(1)
	v_mul_f64 v[32:33], v[40:41], v[36:37]
	v_mul_f64 v[30:31], v[40:41], v[34:35]
	v_fmac_f64_e32 v[32:33], v[38:39], v[34:35]
	v_fma_f64 v[34:35], v[38:39], v[36:37], -v[30:31]
	ds_read_b128 v[36:39], v166 offset:12480
	ds_read_b128 v[46:49], v166 offset:13440
	scratch_load_dwordx4 v[50:53], off, off offset:648 ; 16-byte Folded Reload
	s_waitcnt vmcnt(0) lgkmcnt(1)
	v_mul_f64 v[142:143], v[52:53], v[38:39]
	v_mul_f64 v[30:31], v[52:53], v[36:37]
	v_fmac_f64_e32 v[142:143], v[50:51], v[36:37]
	v_fma_f64 v[148:149], v[50:51], v[38:39], -v[30:31]
	ds_read_b128 v[38:41], v166 offset:18240
	ds_read_b128 v[50:53], v166 offset:19200
	scratch_load_dwordx4 v[54:57], off, off offset:632 ; 16-byte Folded Reload
	;; [unrolled: 8-line block ×3, first 2 shown]
	v_add_f64 v[154:155], v[34:35], v[38:39]
	s_waitcnt vmcnt(0) lgkmcnt(1)
	v_mul_f64 v[100:101], v[64:65], v[56:57]
	v_mul_f64 v[30:31], v[64:65], v[54:55]
	v_fmac_f64_e32 v[100:101], v[62:63], v[54:55]
	v_fma_f64 v[102:103], v[62:63], v[56:57], -v[30:31]
	ds_read_b128 v[54:57], v166 offset:29760
	ds_read_b128 v[62:65], v166 offset:30720
	scratch_load_dwordx4 v[74:77], off, off offset:600 ; 16-byte Folded Reload
	v_add_f64 v[146:147], v[148:149], -v[102:103]
	s_waitcnt vmcnt(0) lgkmcnt(1)
	v_mul_f64 v[104:105], v[76:77], v[56:57]
	v_mul_f64 v[30:31], v[76:77], v[54:55]
	v_fmac_f64_e32 v[104:105], v[74:75], v[54:55]
	v_fma_f64 v[106:107], v[74:75], v[56:57], -v[30:31]
	scratch_load_dwordx4 v[54:57], off, off offset:744 ; 16-byte Folded Reload
	v_accvgpr_read_b32 v74, a212
	v_accvgpr_read_b32 v76, a214
	;; [unrolled: 1-line block ×4, first 2 shown]
	s_waitcnt vmcnt(0)
	v_mul_f64 v[40:41], v[56:57], v[44:45]
	v_mul_f64 v[30:31], v[56:57], v[42:43]
	v_fmac_f64_e32 v[40:41], v[54:55], v[42:43]
	v_fma_f64 v[42:43], v[54:55], v[44:45], -v[30:31]
	scratch_load_dwordx4 v[54:57], off, off offset:728 ; 16-byte Folded Reload
	s_waitcnt vmcnt(0)
	v_mul_f64 v[160:161], v[56:57], v[48:49]
	v_mul_f64 v[30:31], v[56:57], v[46:47]
	v_fmac_f64_e32 v[160:161], v[54:55], v[46:47]
	v_fma_f64 v[168:169], v[54:55], v[48:49], -v[30:31]
	scratch_load_dwordx4 v[46:49], off, off offset:712 ; 16-byte Folded Reload
	v_accvgpr_read_b32 v54, a216
	v_accvgpr_read_b32 v56, a218
	;; [unrolled: 1-line block ×4, first 2 shown]
	s_waitcnt vmcnt(0)
	v_mul_f64 v[44:45], v[48:49], v[52:53]
	v_fmac_f64_e32 v[44:45], v[46:47], v[50:51]
	v_mul_f64 v[30:31], v[48:49], v[50:51]
	scratch_load_dwordx4 v[48:51], off, off offset:696 ; 16-byte Folded Reload
	v_fma_f64 v[46:47], v[46:47], v[52:53], -v[30:31]
	v_add_f64 v[178:179], v[42:43], v[46:47]
	v_add_f64 v[172:173], v[40:41], v[44:45]
	s_waitcnt vmcnt(0)
	v_mul_f64 v[90:91], v[50:51], v[60:61]
	v_mul_f64 v[30:31], v[50:51], v[58:59]
	v_fmac_f64_e32 v[90:91], v[48:49], v[58:59]
	v_fma_f64 v[94:95], v[48:49], v[60:61], -v[30:31]
	scratch_load_dwordx4 v[48:51], off, off offset:680 ; 16-byte Folded Reload
	s_waitcnt vmcnt(0) lgkmcnt(0)
	v_mul_f64 v[96:97], v[50:51], v[64:65]
	v_mul_f64 v[30:31], v[50:51], v[62:63]
	ds_read_b128 v[50:53], v166 offset:8640
	ds_read_b128 v[58:61], v166 offset:9600
	v_fmac_f64_e32 v[96:97], v[48:49], v[62:63]
	v_fma_f64 v[98:99], v[48:49], v[64:65], -v[30:31]
	v_add_f64 v[176:177], v[46:47], -v[98:99]
	s_waitcnt lgkmcnt(1)
	v_mul_f64 v[48:49], v[56:57], v[52:53]
	v_mul_f64 v[30:31], v[56:57], v[50:51]
	v_fmac_f64_e32 v[48:49], v[54:55], v[50:51]
	v_fma_f64 v[50:51], v[54:55], v[52:53], -v[30:31]
	ds_read_b128 v[52:55], v166 offset:14400
	ds_read_b128 v[62:65], v166 offset:15360
	v_add_f64 v[46:47], v[46:47], v[98:99]
	v_fmac_f64_e32 v[42:43], -0.5, v[46:47]
	s_waitcnt lgkmcnt(1)
	v_mul_f64 v[184:185], v[76:77], v[54:55]
	v_mul_f64 v[30:31], v[76:77], v[52:53]
	v_fmac_f64_e32 v[184:185], v[74:75], v[52:53]
	v_fma_f64 v[188:189], v[74:75], v[54:55], -v[30:31]
	ds_read_b128 v[54:57], v166 offset:20160
	ds_read_b128 v[74:77], v166 offset:21120
	s_waitcnt lgkmcnt(1)
	v_mul_f64 v[52:53], v[80:81], v[56:57]
	v_mul_f64 v[30:31], v[80:81], v[54:55]
	v_fmac_f64_e32 v[52:53], v[78:79], v[54:55]
	v_fma_f64 v[54:55], v[78:79], v[56:57], -v[30:31]
	ds_read_b128 v[78:81], v166 offset:25920
	ds_read_b128 v[124:127], v166 offset:26880
	scratch_load_dwordx4 v[86:89], off, off offset:760 ; 16-byte Folded Reload
	v_add_f64 v[194:195], v[50:51], v[54:55]
	v_add_f64 v[190:191], v[48:49], v[52:53]
	s_waitcnt vmcnt(0) lgkmcnt(1)
	v_mul_f64 v[84:85], v[88:89], v[80:81]
	v_mul_f64 v[30:31], v[88:89], v[78:79]
	v_fmac_f64_e32 v[84:85], v[86:87], v[78:79]
	v_fma_f64 v[86:87], v[86:87], v[80:81], -v[30:31]
	ds_read_b128 v[78:81], v166 offset:31680
	ds_read_b128 v[128:131], v166 offset:32640
	ds_read_b128 v[150:153], v166
	s_waitcnt lgkmcnt(2)
	v_mul_f64 v[88:89], v[138:139], v[80:81]
	v_mul_f64 v[30:31], v[138:139], v[78:79]
	v_fmac_f64_e32 v[88:89], v[136:137], v[78:79]
	v_fma_f64 v[92:93], v[136:137], v[80:81], -v[30:31]
	v_accvgpr_read_b32 v81, a5
	v_accvgpr_read_b32 v80, a4
	v_accvgpr_read_b32 v79, a3
	v_accvgpr_read_b32 v78, a2
	v_mul_f64 v[56:57], v[80:81], v[60:61]
	v_mul_f64 v[30:31], v[80:81], v[58:59]
	v_fmac_f64_e32 v[56:57], v[78:79], v[58:59]
	v_fma_f64 v[58:59], v[78:79], v[60:61], -v[30:31]
	v_accvgpr_read_b32 v78, a240
	v_accvgpr_read_b32 v80, a242
	v_accvgpr_read_b32 v81, a243
	v_accvgpr_read_b32 v79, a241
	;; [unrolled: 8-line block ×3, first 2 shown]
	v_accvgpr_read_b32 v63, a233
	v_mul_f64 v[60:61], v[64:65], v[76:77]
	v_mul_f64 v[30:31], v[64:65], v[74:75]
	v_accvgpr_read_b32 v80, a226
	v_accvgpr_read_b32 v81, a227
	v_fmac_f64_e32 v[60:61], v[62:63], v[74:75]
	v_fma_f64 v[62:63], v[62:63], v[76:77], -v[30:31]
	v_accvgpr_read_b32 v79, a225
	v_mul_f64 v[76:77], v[80:81], v[126:127]
	v_mul_f64 v[30:31], v[80:81], v[124:125]
	v_fmac_f64_e32 v[76:77], v[78:79], v[124:125]
	v_fma_f64 v[78:79], v[78:79], v[126:127], -v[30:31]
	v_accvgpr_read_b32 v124, a244
	v_accvgpr_read_b32 v126, a246
	;; [unrolled: 1-line block ×4, first 2 shown]
	s_waitcnt lgkmcnt(1)
	v_mul_f64 v[80:81], v[126:127], v[130:131]
	v_mul_f64 v[30:31], v[126:127], v[128:129]
	v_fmac_f64_e32 v[80:81], v[124:125], v[128:129]
	v_fma_f64 v[82:83], v[124:125], v[130:131], -v[30:31]
	v_accvgpr_read_b32 v127, a13
	v_accvgpr_read_b32 v126, a12
	;; [unrolled: 1-line block ×4, first 2 shown]
	v_mul_f64 v[64:65], v[126:127], v[68:69]
	v_mul_f64 v[30:31], v[126:127], v[66:67]
	v_fmac_f64_e32 v[64:65], v[124:125], v[66:67]
	v_fma_f64 v[66:67], v[124:125], v[68:69], -v[30:31]
	v_accvgpr_read_b32 v124, a248
	v_accvgpr_read_b32 v126, a250
	;; [unrolled: 1-line block ×4, first 2 shown]
	v_mul_f64 v[138:139], v[126:127], v[72:73]
	v_fmac_f64_e32 v[138:139], v[124:125], v[70:71]
	v_mul_f64 v[30:31], v[126:127], v[70:71]
	v_accvgpr_read_b32 v68, a236
	v_accvgpr_read_b32 v70, a238
	;; [unrolled: 1-line block ×3, first 2 shown]
	v_fma_f64 v[144:145], v[124:125], v[72:73], -v[30:31]
	v_accvgpr_read_b32 v69, a237
	v_mul_f64 v[128:129], v[70:71], v[118:119]
	v_mul_f64 v[30:31], v[70:71], v[116:117]
	v_fmac_f64_e32 v[128:129], v[68:69], v[116:117]
	v_fma_f64 v[136:137], v[68:69], v[118:119], -v[30:31]
	v_accvgpr_read_b32 v70, a228
	ds_read_b128 v[116:119], v166 offset:33600
	v_accvgpr_read_b32 v72, a230
	v_accvgpr_read_b32 v73, a231
	;; [unrolled: 1-line block ×3, first 2 shown]
	v_mul_f64 v[68:69], v[72:73], v[122:123]
	v_mul_f64 v[30:31], v[72:73], v[120:121]
	v_fmac_f64_e32 v[68:69], v[70:71], v[120:121]
	v_fma_f64 v[70:71], v[70:71], v[122:123], -v[30:31]
	v_accvgpr_read_b32 v120, a252
	v_accvgpr_read_b32 v122, a254
	;; [unrolled: 1-line block ×4, first 2 shown]
	s_waitcnt lgkmcnt(0)
	v_mul_f64 v[30:31], v[122:123], v[116:117]
	v_mul_f64 v[72:73], v[122:123], v[118:119]
	v_fma_f64 v[74:75], v[120:121], v[118:119], -v[30:31]
	v_add_f64 v[30:31], v[26:27], v[108:109]
	v_fmac_f64_e32 v[72:73], v[120:121], v[116:117]
	v_add_f64 v[116:117], v[150:151], v[26:27]
	v_fmac_f64_e32 v[150:151], -0.5, v[30:31]
	v_add_f64 v[30:31], v[132:133], -v[110:111]
	v_fma_f64 v[118:119], s[0:1], v[30:31], v[150:151]
	v_fmac_f64_e32 v[150:151], s[8:9], v[30:31]
	v_add_f64 v[30:31], v[132:133], v[110:111]
	v_add_f64 v[122:123], v[152:153], v[132:133]
	v_fmac_f64_e32 v[152:153], -0.5, v[30:31]
	v_add_f64 v[26:27], v[26:27], -v[108:109]
	v_fma_f64 v[120:121], s[8:9], v[26:27], v[152:153]
	v_fmac_f64_e32 v[152:153], s[0:1], v[26:27]
	v_add_f64 v[26:27], v[134:135], v[112:113]
	;; [unrolled: 6-line block ×3, first 2 shown]
	v_add_f64 v[132:133], v[24:25], v[140:141]
	v_fmac_f64_e32 v[24:25], -0.5, v[26:27]
	v_add_f64 v[26:27], v[134:135], -v[112:113]
	v_fma_f64 v[130:131], s[8:9], v[26:27], v[24:25]
	v_fmac_f64_e32 v[24:25], s[0:1], v[26:27]
	ds_read_b128 v[156:159], v166 offset:960
	ds_read_b128 v[180:183], v166 offset:1920
	v_mul_f64 v[26:27], v[24:25], s[0:1]
	v_mul_f64 v[134:135], v[24:25], -0.5
	v_fmac_f64_e32 v[26:27], -0.5, v[28:29]
	v_fmac_f64_e32 v[134:135], s[8:9], v[28:29]
	v_add_f64 v[28:29], v[150:151], v[26:27]
	v_add_f64 v[30:31], v[152:153], v[134:135]
	v_add_f64 v[24:25], v[150:151], -v[26:27]
	v_add_f64 v[26:27], v[152:153], -v[134:135]
	v_add_f64 v[134:135], v[142:143], v[100:101]
	s_waitcnt lgkmcnt(1)
	v_add_f64 v[140:141], v[156:157], v[142:143]
	v_fmac_f64_e32 v[156:157], -0.5, v[134:135]
	v_fma_f64 v[134:135], s[0:1], v[146:147], v[156:157]
	v_fmac_f64_e32 v[156:157], s[8:9], v[146:147]
	v_add_f64 v[146:147], v[158:159], v[148:149]
	v_add_f64 v[148:149], v[148:149], v[102:103]
	v_fmac_f64_e32 v[158:159], -0.5, v[148:149]
	v_add_f64 v[148:149], v[142:143], -v[100:101]
	v_fma_f64 v[142:143], s[8:9], v[148:149], v[158:159]
	v_fmac_f64_e32 v[158:159], s[0:1], v[148:149]
	v_add_f64 v[148:149], v[36:37], v[104:105]
	v_add_f64 v[152:153], v[38:39], -v[106:107]
	v_add_f64 v[38:39], v[38:39], v[106:107]
	v_add_f64 v[150:151], v[32:33], v[36:37]
	v_fmac_f64_e32 v[32:33], -0.5, v[148:149]
	v_fmac_f64_e32 v[34:35], -0.5, v[38:39]
	v_add_f64 v[36:37], v[36:37], -v[104:105]
	v_add_f64 v[116:117], v[116:117], v[108:109]
	v_add_f64 v[112:113], v[126:127], v[112:113]
	v_fma_f64 v[148:149], s[0:1], v[152:153], v[32:33]
	v_fmac_f64_e32 v[32:33], s[8:9], v[152:153]
	v_fma_f64 v[152:153], s[8:9], v[36:37], v[34:35]
	v_fmac_f64_e32 v[34:35], s[0:1], v[36:37]
	v_add_f64 v[108:109], v[116:117], v[112:113]
	v_add_f64 v[112:113], v[116:117], -v[112:113]
	v_mul_f64 v[116:117], v[130:131], s[0:1]
	v_mul_f64 v[126:127], v[130:131], 0.5
	v_mul_f64 v[162:163], v[34:35], s[0:1]
	v_add_f64 v[122:123], v[122:123], v[110:111]
	v_add_f64 v[114:115], v[132:133], v[114:115]
	v_fmac_f64_e32 v[116:117], 0.5, v[124:125]
	v_fmac_f64_e32 v[126:127], s[8:9], v[124:125]
	v_fmac_f64_e32 v[162:163], -0.5, v[32:33]
	v_mul_f64 v[34:35], v[34:35], -0.5
	v_add_f64 v[110:111], v[122:123], v[114:115]
	v_add_f64 v[114:115], v[122:123], -v[114:115]
	v_add_f64 v[122:123], v[118:119], v[116:117]
	v_add_f64 v[124:125], v[120:121], v[126:127]
	v_add_f64 v[116:117], v[118:119], -v[116:117]
	v_add_f64 v[118:119], v[120:121], -v[126:127]
	v_accvgpr_read_b32 v120, a1
	v_fmac_f64_e32 v[34:35], s[8:9], v[32:33]
	v_add_f64 v[36:37], v[156:157], v[162:163]
	v_add_f64 v[32:33], v[156:157], -v[162:163]
	v_add_f64 v[156:157], v[160:161], v[90:91]
	ds_read_b128 v[220:223], v166 offset:2880
	ds_read_b128 v[232:235], v166 offset:3840
	s_waitcnt lgkmcnt(0)
	; wave barrier
	s_waitcnt lgkmcnt(0)
	ds_write_b128 v120, v[108:111]
	ds_write_b128 v120, v[122:125] offset:160
	ds_write_b128 v120, v[28:31] offset:320
	;; [unrolled: 1-line block ×5, first 2 shown]
	v_add_f64 v[28:29], v[140:141], v[100:101]
	v_add_f64 v[30:31], v[146:147], v[102:103]
	;; [unrolled: 1-line block ×4, first 2 shown]
	v_mul_f64 v[104:105], v[152:153], s[0:1]
	v_mul_f64 v[106:107], v[152:153], 0.5
	v_add_f64 v[38:39], v[158:159], v[34:35]
	v_add_f64 v[34:35], v[158:159], -v[34:35]
	v_add_f64 v[158:159], v[180:181], v[160:161]
	v_fmac_f64_e32 v[180:181], -0.5, v[156:157]
	v_add_f64 v[162:163], v[168:169], -v[94:95]
	v_add_f64 v[24:25], v[28:29], v[100:101]
	v_add_f64 v[26:27], v[30:31], v[102:103]
	v_fmac_f64_e32 v[104:105], 0.5, v[148:149]
	v_fmac_f64_e32 v[106:107], s[8:9], v[148:149]
	v_accvgpr_read_b32 v108, a174
	v_fma_f64 v[156:157], s[0:1], v[162:163], v[180:181]
	v_fmac_f64_e32 v[180:181], s[8:9], v[162:163]
	v_add_f64 v[162:163], v[182:183], v[168:169]
	v_add_f64 v[168:169], v[168:169], v[94:95]
	v_add_f64 v[28:29], v[28:29], -v[100:101]
	v_add_f64 v[30:31], v[30:31], -v[102:103]
	v_add_f64 v[100:101], v[134:135], v[104:105]
	v_add_f64 v[102:103], v[142:143], v[106:107]
	v_add_f64 v[104:105], v[134:135], -v[104:105]
	v_add_f64 v[106:107], v[142:143], -v[106:107]
	ds_write_b128 v108, v[24:27]
	ds_write_b128 v108, v[100:103] offset:160
	ds_write_b128 v108, v[36:39] offset:320
	;; [unrolled: 1-line block ×5, first 2 shown]
	v_fmac_f64_e32 v[182:183], -0.5, v[168:169]
	v_add_f64 v[168:169], v[160:161], -v[90:91]
	v_add_f64 v[28:29], v[158:159], v[90:91]
	scratch_load_dword v90, off, off offset:388 ; 4-byte Folded Reload
	v_fma_f64 v[160:161], s[8:9], v[168:169], v[182:183]
	v_fmac_f64_e32 v[182:183], s[0:1], v[168:169]
	v_add_f64 v[168:169], v[44:45], v[96:97]
	v_fmac_f64_e32 v[40:41], -0.5, v[168:169]
	v_add_f64 v[44:45], v[44:45], -v[96:97]
	v_fma_f64 v[168:169], s[0:1], v[176:177], v[40:41]
	v_fmac_f64_e32 v[40:41], s[8:9], v[176:177]
	v_fma_f64 v[176:177], s[8:9], v[44:45], v[42:43]
	v_fmac_f64_e32 v[42:43], s[0:1], v[44:45]
	v_mul_f64 v[186:187], v[42:43], s[0:1]
	v_mul_f64 v[42:43], v[42:43], -0.5
	v_add_f64 v[30:31], v[162:163], v[94:95]
	v_add_f64 v[32:33], v[172:173], v[96:97]
	;; [unrolled: 1-line block ×3, first 2 shown]
	v_mul_f64 v[36:37], v[176:177], s[0:1]
	v_mul_f64 v[38:39], v[176:177], 0.5
	v_fmac_f64_e32 v[186:187], -0.5, v[40:41]
	v_fmac_f64_e32 v[42:43], s[8:9], v[40:41]
	v_add_f64 v[24:25], v[28:29], v[32:33]
	v_add_f64 v[26:27], v[30:31], v[34:35]
	v_fmac_f64_e32 v[36:37], 0.5, v[168:169]
	v_fmac_f64_e32 v[38:39], s[8:9], v[168:169]
	v_add_f64 v[44:45], v[180:181], v[186:187]
	v_add_f64 v[46:47], v[182:183], v[42:43]
	v_add_f64 v[40:41], v[180:181], -v[186:187]
	v_add_f64 v[42:43], v[182:183], -v[42:43]
	;; [unrolled: 1-line block ×4, first 2 shown]
	v_add_f64 v[32:33], v[156:157], v[36:37]
	v_add_f64 v[34:35], v[160:161], v[38:39]
	v_add_f64 v[36:37], v[156:157], -v[36:37]
	v_add_f64 v[38:39], v[160:161], -v[38:39]
	s_waitcnt vmcnt(0)
	ds_write_b128 v90, v[24:27]
	ds_write_b128 v90, v[32:35] offset:160
	ds_write_b128 v90, v[44:47] offset:320
	;; [unrolled: 1-line block ×5, first 2 shown]
	scratch_load_dword v40, off, off offset:384 ; 4-byte Folded Reload
	v_add_f64 v[180:181], v[184:185], v[84:85]
	v_add_f64 v[182:183], v[220:221], v[184:185]
	v_fmac_f64_e32 v[220:221], -0.5, v[180:181]
	v_add_f64 v[186:187], v[188:189], -v[86:87]
	v_fma_f64 v[180:181], s[0:1], v[186:187], v[220:221]
	v_fmac_f64_e32 v[220:221], s[8:9], v[186:187]
	v_add_f64 v[186:187], v[222:223], v[188:189]
	v_add_f64 v[188:189], v[188:189], v[86:87]
	v_fmac_f64_e32 v[222:223], -0.5, v[188:189]
	v_add_f64 v[188:189], v[184:185], -v[84:85]
	v_fma_f64 v[184:185], s[8:9], v[188:189], v[222:223]
	v_fmac_f64_e32 v[222:223], s[0:1], v[188:189]
	v_add_f64 v[188:189], v[52:53], v[88:89]
	v_add_f64 v[192:193], v[54:55], -v[92:93]
	v_add_f64 v[54:55], v[54:55], v[92:93]
	v_fmac_f64_e32 v[48:49], -0.5, v[188:189]
	v_fmac_f64_e32 v[50:51], -0.5, v[54:55]
	v_add_f64 v[52:53], v[52:53], -v[88:89]
	v_fma_f64 v[188:189], s[0:1], v[192:193], v[48:49]
	v_fmac_f64_e32 v[48:49], s[8:9], v[192:193]
	v_fma_f64 v[192:193], s[8:9], v[52:53], v[50:51]
	v_fmac_f64_e32 v[50:51], s[0:1], v[52:53]
	v_mul_f64 v[224:225], v[50:51], s[0:1]
	v_mul_f64 v[50:51], v[50:51], -0.5
	v_add_f64 v[28:29], v[182:183], v[84:85]
	v_add_f64 v[30:31], v[186:187], v[86:87]
	;; [unrolled: 1-line block ×4, first 2 shown]
	v_mul_f64 v[36:37], v[192:193], s[0:1]
	v_mul_f64 v[38:39], v[192:193], 0.5
	v_fmac_f64_e32 v[224:225], -0.5, v[48:49]
	v_fmac_f64_e32 v[50:51], s[8:9], v[48:49]
	v_add_f64 v[24:25], v[28:29], v[32:33]
	v_add_f64 v[26:27], v[30:31], v[34:35]
	v_fmac_f64_e32 v[36:37], 0.5, v[188:189]
	v_fmac_f64_e32 v[38:39], s[8:9], v[188:189]
	v_add_f64 v[52:53], v[220:221], v[224:225]
	v_add_f64 v[54:55], v[222:223], v[50:51]
	v_add_f64 v[48:49], v[220:221], -v[224:225]
	v_add_f64 v[50:51], v[222:223], -v[50:51]
	;; [unrolled: 1-line block ×4, first 2 shown]
	v_add_f64 v[32:33], v[180:181], v[36:37]
	v_add_f64 v[34:35], v[184:185], v[38:39]
	v_add_f64 v[36:37], v[180:181], -v[36:37]
	v_add_f64 v[38:39], v[184:185], -v[38:39]
	s_waitcnt vmcnt(0)
	ds_write_b128 v40, v[24:27]
	ds_write_b128 v40, v[32:35] offset:160
	ds_write_b128 v40, v[52:55] offset:320
	;; [unrolled: 1-line block ×5, first 2 shown]
	scratch_load_dword v40, off, off offset:380 ; 4-byte Folded Reload
	v_add_f64 v[220:221], v[170:171], v[76:77]
	v_add_f64 v[222:223], v[232:233], v[170:171]
	v_fmac_f64_e32 v[232:233], -0.5, v[220:221]
	v_add_f64 v[224:225], v[174:175], -v[78:79]
	v_fma_f64 v[220:221], s[0:1], v[224:225], v[232:233]
	v_fmac_f64_e32 v[232:233], s[8:9], v[224:225]
	v_add_f64 v[224:225], v[234:235], v[174:175]
	v_add_f64 v[174:175], v[174:175], v[78:79]
	v_fmac_f64_e32 v[234:235], -0.5, v[174:175]
	v_add_f64 v[174:175], v[170:171], -v[76:77]
	v_fma_f64 v[170:171], s[8:9], v[174:175], v[234:235]
	v_fmac_f64_e32 v[234:235], s[0:1], v[174:175]
	v_add_f64 v[174:175], v[60:61], v[80:81]
	v_add_f64 v[228:229], v[62:63], -v[82:83]
	v_add_f64 v[230:231], v[58:59], v[62:63]
	v_add_f64 v[62:63], v[62:63], v[82:83]
	;; [unrolled: 1-line block ×3, first 2 shown]
	v_fmac_f64_e32 v[56:57], -0.5, v[174:175]
	v_fmac_f64_e32 v[58:59], -0.5, v[62:63]
	v_add_f64 v[60:61], v[60:61], -v[80:81]
	v_fma_f64 v[174:175], s[0:1], v[228:229], v[56:57]
	v_fmac_f64_e32 v[56:57], s[8:9], v[228:229]
	v_fma_f64 v[228:229], s[8:9], v[60:61], v[58:59]
	v_fmac_f64_e32 v[58:59], s[0:1], v[60:61]
	v_mul_f64 v[236:237], v[58:59], s[0:1]
	v_mul_f64 v[58:59], v[58:59], -0.5
	v_add_f64 v[28:29], v[222:223], v[76:77]
	v_add_f64 v[30:31], v[224:225], v[78:79]
	;; [unrolled: 1-line block ×4, first 2 shown]
	v_mul_f64 v[36:37], v[228:229], s[0:1]
	v_mul_f64 v[38:39], v[228:229], 0.5
	v_fmac_f64_e32 v[236:237], -0.5, v[56:57]
	v_fmac_f64_e32 v[58:59], s[8:9], v[56:57]
	v_add_f64 v[24:25], v[28:29], v[32:33]
	v_add_f64 v[26:27], v[30:31], v[34:35]
	v_fmac_f64_e32 v[36:37], 0.5, v[174:175]
	v_fmac_f64_e32 v[38:39], s[8:9], v[174:175]
	v_add_f64 v[60:61], v[232:233], v[236:237]
	v_add_f64 v[62:63], v[234:235], v[58:59]
	v_add_f64 v[56:57], v[232:233], -v[236:237]
	v_add_f64 v[58:59], v[234:235], -v[58:59]
	;; [unrolled: 1-line block ×4, first 2 shown]
	v_add_f64 v[32:33], v[220:221], v[36:37]
	v_add_f64 v[34:35], v[170:171], v[38:39]
	v_add_f64 v[36:37], v[220:221], -v[36:37]
	v_add_f64 v[38:39], v[170:171], -v[38:39]
	s_waitcnt vmcnt(0)
	ds_write_b128 v40, v[24:27]
	ds_write_b128 v40, v[32:35] offset:160
	ds_write_b128 v40, v[60:63] offset:320
	;; [unrolled: 1-line block ×5, first 2 shown]
	scratch_load_dword v40, off, off offset:376 ; 4-byte Folded Reload
	v_add_f64 v[232:233], v[138:139], v[68:69]
	v_add_f64 v[234:235], v[20:21], v[138:139]
	v_fmac_f64_e32 v[20:21], -0.5, v[232:233]
	v_add_f64 v[236:237], v[144:145], -v[70:71]
	v_fma_f64 v[232:233], s[0:1], v[236:237], v[20:21]
	v_fmac_f64_e32 v[20:21], s[8:9], v[236:237]
	v_add_f64 v[236:237], v[22:23], v[144:145]
	v_add_f64 v[144:145], v[144:145], v[70:71]
	v_fmac_f64_e32 v[22:23], -0.5, v[144:145]
	v_add_f64 v[144:145], v[138:139], -v[68:69]
	v_fma_f64 v[138:139], s[8:9], v[144:145], v[22:23]
	v_fmac_f64_e32 v[22:23], s[0:1], v[144:145]
	;; [unrolled: 6-line block ×4, first 2 shown]
	v_mul_f64 v[136:137], v[66:67], s[0:1]
	v_mul_f64 v[242:243], v[66:67], -0.5
	v_fmac_f64_e32 v[136:137], -0.5, v[64:65]
	v_fmac_f64_e32 v[242:243], s[8:9], v[64:65]
	v_add_f64 v[28:29], v[234:235], v[68:69]
	v_add_f64 v[30:31], v[236:237], v[70:71]
	;; [unrolled: 1-line block ×4, first 2 shown]
	v_mul_f64 v[36:37], v[128:129], s[0:1]
	v_mul_f64 v[38:39], v[128:129], 0.5
	v_add_f64 v[64:65], v[20:21], v[136:137]
	v_add_f64 v[66:67], v[22:23], v[242:243]
	v_add_f64 v[20:21], v[20:21], -v[136:137]
	v_add_f64 v[22:23], v[22:23], -v[242:243]
	v_add_f64 v[24:25], v[28:29], v[32:33]
	v_add_f64 v[26:27], v[30:31], v[34:35]
	v_fmac_f64_e32 v[36:37], 0.5, v[144:145]
	v_fmac_f64_e32 v[38:39], s[8:9], v[144:145]
	v_add_f64 v[28:29], v[28:29], -v[32:33]
	v_add_f64 v[30:31], v[30:31], -v[34:35]
	v_add_f64 v[32:33], v[232:233], v[36:37]
	v_add_f64 v[34:35], v[138:139], v[38:39]
	v_add_f64 v[36:37], v[232:233], -v[36:37]
	v_add_f64 v[38:39], v[138:139], -v[38:39]
	s_waitcnt vmcnt(0)
	ds_write_b128 v40, v[24:27]
	ds_write_b128 v40, v[32:35] offset:160
	ds_write_b128 v40, v[64:67] offset:320
	;; [unrolled: 1-line block ×5, first 2 shown]
	s_waitcnt lgkmcnt(0)
	; wave barrier
	s_waitcnt lgkmcnt(0)
	ds_read_b128 v[24:27], v166 offset:5760
	ds_read_b128 v[20:23], v166 offset:4800
	v_accvgpr_read_b32 v69, a17
	v_accvgpr_read_b32 v68, a16
	;; [unrolled: 1-line block ×3, first 2 shown]
	s_waitcnt lgkmcnt(1)
	v_mul_f64 v[120:121], v[14:15], v[26:27]
	v_fmac_f64_e32 v[120:121], v[12:13], v[24:25]
	v_mul_f64 v[24:25], v[14:15], v[24:25]
	v_fma_f64 v[122:123], v[12:13], v[26:27], -v[24:25]
	ds_read_b128 v[26:29], v166 offset:6720
	ds_read_b128 v[30:33], v166 offset:7680
	v_accvgpr_read_b32 v66, a14
	v_accvgpr_read_b32 v113, a61
	;; [unrolled: 1-line block ×3, first 2 shown]
	s_waitcnt lgkmcnt(1)
	v_mul_f64 v[24:25], v[14:15], v[28:29]
	v_mul_f64 v[14:15], v[14:15], v[26:27]
	v_fmac_f64_e32 v[24:25], v[12:13], v[26:27]
	v_fma_f64 v[12:13], v[12:13], v[28:29], -v[14:15]
	ds_read_b128 v[26:29], v166 offset:11520
	ds_read_b128 v[46:49], v166 offset:10560
	v_accvgpr_read_b32 v111, a59
	v_accvgpr_read_b32 v110, a58
	s_waitcnt lgkmcnt(1)
	v_mul_f64 v[104:105], v[10:11], v[28:29]
	v_mul_f64 v[14:15], v[10:11], v[26:27]
	v_fmac_f64_e32 v[104:105], v[8:9], v[26:27]
	v_fma_f64 v[106:107], v[8:9], v[28:29], -v[14:15]
	ds_read_b128 v[26:29], v166 offset:12480
	ds_read_b128 v[34:37], v166 offset:13440
	s_waitcnt lgkmcnt(1)
	v_mul_f64 v[14:15], v[10:11], v[28:29]
	v_mul_f64 v[10:11], v[10:11], v[26:27]
	v_fmac_f64_e32 v[14:15], v[8:9], v[26:27]
	v_fma_f64 v[124:125], v[8:9], v[28:29], -v[10:11]
	ds_read_b128 v[8:11], v166 offset:17280
	ds_read_b128 v[50:53], v166 offset:16320
	;; [unrolled: 1-line block ×4, first 2 shown]
	s_waitcnt lgkmcnt(3)
	v_mul_f64 v[108:109], v[6:7], v[10:11]
	v_fmac_f64_e32 v[108:109], v[4:5], v[8:9]
	v_mul_f64 v[8:9], v[6:7], v[8:9]
	v_fma_f64 v[126:127], v[4:5], v[10:11], -v[8:9]
	s_waitcnt lgkmcnt(1)
	v_mul_f64 v[8:9], v[6:7], v[28:29]
	v_mul_f64 v[6:7], v[6:7], v[26:27]
	v_fmac_f64_e32 v[8:9], v[4:5], v[26:27]
	v_fma_f64 v[10:11], v[4:5], v[28:29], -v[6:7]
	ds_read_b128 v[4:7], v166 offset:23040
	ds_read_b128 v[96:99], v166 offset:22080
	v_accvgpr_read_b32 v29, a21
	v_accvgpr_read_b32 v28, a20
	;; [unrolled: 1-line block ×3, first 2 shown]
	s_waitcnt lgkmcnt(1)
	v_mul_f64 v[76:77], v[2:3], v[6:7]
	v_fmac_f64_e32 v[76:77], v[0:1], v[4:5]
	v_mul_f64 v[4:5], v[2:3], v[4:5]
	v_fma_f64 v[78:79], v[0:1], v[6:7], -v[4:5]
	ds_read_b128 v[4:7], v166 offset:24000
	ds_read_b128 v[42:45], v166 offset:24960
	v_accvgpr_read_b32 v26, a18
	v_add_f64 v[130:131], v[24:25], v[8:9]
	v_add_f64 v[134:135], v[12:13], v[10:11]
	s_waitcnt lgkmcnt(1)
	v_mul_f64 v[72:73], v[2:3], v[6:7]
	v_mul_f64 v[2:3], v[2:3], v[4:5]
	v_fmac_f64_e32 v[72:73], v[0:1], v[4:5]
	v_fma_f64 v[74:75], v[0:1], v[6:7], -v[2:3]
	ds_read_b128 v[0:3], v166 offset:28800
	ds_read_b128 v[4:7], v166 offset:27840
	s_waitcnt lgkmcnt(1)
	v_mul_f64 v[84:85], v[18:19], v[2:3]
	v_fmac_f64_e32 v[84:85], v[16:17], v[0:1]
	v_mul_f64 v[0:1], v[18:19], v[0:1]
	v_fma_f64 v[88:89], v[16:17], v[2:3], -v[0:1]
	ds_read_b128 v[0:3], v166 offset:29760
	ds_read_b128 v[54:57], v166 offset:30720
	s_waitcnt lgkmcnt(1)
	v_mul_f64 v[80:81], v[18:19], v[2:3]
	v_fmac_f64_e32 v[80:81], v[16:17], v[0:1]
	v_mul_f64 v[0:1], v[18:19], v[0:1]
	v_fma_f64 v[82:83], v[16:17], v[2:3], -v[0:1]
	v_mul_f64 v[16:17], v[28:29], v[32:33]
	v_mul_f64 v[0:1], v[28:29], v[30:31]
	v_fmac_f64_e32 v[16:17], v[26:27], v[30:31]
	v_fma_f64 v[18:19], v[26:27], v[32:33], -v[0:1]
	v_accvgpr_read_b32 v29, a25
	v_accvgpr_read_b32 v28, a24
	v_mul_f64 v[142:143], v[28:29], v[36:37]
	v_mul_f64 v[0:1], v[28:29], v[34:35]
	v_accvgpr_read_b32 v31, a29
	v_accvgpr_read_b32 v27, a23
	;; [unrolled: 1-line block ×4, first 2 shown]
	v_fmac_f64_e32 v[142:143], v[26:27], v[34:35]
	v_fma_f64 v[146:147], v[26:27], v[36:37], -v[0:1]
	v_accvgpr_read_b32 v29, a27
	v_accvgpr_read_b32 v28, a26
	v_mul_f64 v[26:27], v[30:31], v[40:41]
	v_mul_f64 v[0:1], v[30:31], v[38:39]
	v_fmac_f64_e32 v[26:27], v[28:29], v[38:39]
	v_fma_f64 v[140:141], v[28:29], v[40:41], -v[0:1]
	v_accvgpr_read_b32 v31, a9
	v_accvgpr_read_b32 v30, a8
	;; [unrolled: 1-line block ×4, first 2 shown]
	v_mul_f64 v[86:87], v[30:31], v[44:45]
	v_mul_f64 v[0:1], v[30:31], v[42:43]
	v_fmac_f64_e32 v[86:87], v[28:29], v[42:43]
	v_fma_f64 v[90:91], v[28:29], v[44:45], -v[0:1]
	v_accvgpr_read_b32 v28, a112
	v_accvgpr_read_b32 v30, a114
	;; [unrolled: 1-line block ×4, first 2 shown]
	s_waitcnt lgkmcnt(0)
	v_mul_f64 v[0:1], v[30:31], v[54:55]
	v_fma_f64 v[94:95], v[28:29], v[56:57], -v[0:1]
	ds_read_b128 v[0:3], v166 offset:8640
	ds_read_b128 v[38:41], v166 offset:9600
	v_mul_f64 v[92:93], v[30:31], v[56:57]
	v_accvgpr_read_b32 v30, a108
	v_accvgpr_read_b32 v32, a110
	;; [unrolled: 1-line block ×3, first 2 shown]
	v_fmac_f64_e32 v[92:93], v[28:29], v[54:55]
	v_accvgpr_read_b32 v31, a109
	s_waitcnt lgkmcnt(1)
	v_mul_f64 v[28:29], v[32:33], v[2:3]
	v_fmac_f64_e32 v[28:29], v[30:31], v[0:1]
	v_mul_f64 v[0:1], v[32:33], v[0:1]
	v_fma_f64 v[30:31], v[30:31], v[2:3], -v[0:1]
	ds_read_b128 v[0:3], v166 offset:14400
	ds_read_b128 v[42:45], v166 offset:15360
	v_accvgpr_read_b32 v32, a104
	v_accvgpr_read_b32 v34, a106
	;; [unrolled: 1-line block ×4, first 2 shown]
	s_waitcnt lgkmcnt(1)
	v_mul_f64 v[144:145], v[34:35], v[2:3]
	v_fmac_f64_e32 v[144:145], v[32:33], v[0:1]
	v_mul_f64 v[0:1], v[34:35], v[0:1]
	v_fma_f64 v[148:149], v[32:33], v[2:3], -v[0:1]
	ds_read_b128 v[0:3], v166 offset:20160
	ds_read_b128 v[54:57], v166 offset:21120
	v_accvgpr_read_b32 v34, a38
	v_accvgpr_read_b32 v36, a40
	;; [unrolled: 1-line block ×4, first 2 shown]
	s_waitcnt lgkmcnt(1)
	v_mul_f64 v[32:33], v[36:37], v[2:3]
	v_fmac_f64_e32 v[32:33], v[34:35], v[0:1]
	v_mul_f64 v[0:1], v[36:37], v[0:1]
	v_fma_f64 v[34:35], v[34:35], v[2:3], -v[0:1]
	ds_read_b128 v[0:3], v166 offset:25920
	ds_read_b128 v[58:61], v166 offset:26880
	v_add_f64 v[172:173], v[16:17], v[26:27]
	v_add_f64 v[178:179], v[18:19], v[140:141]
	s_waitcnt lgkmcnt(1)
	v_mul_f64 v[64:65], v[68:69], v[2:3]
	v_fmac_f64_e32 v[64:65], v[66:67], v[0:1]
	v_mul_f64 v[0:1], v[68:69], v[0:1]
	v_fma_f64 v[66:67], v[66:67], v[2:3], -v[0:1]
	ds_read_b128 v[0:3], v166 offset:31680
	ds_read_b128 v[100:103], v166 offset:32640
	s_waitcnt lgkmcnt(1)
	v_mul_f64 v[68:69], v[112:113], v[2:3]
	v_fmac_f64_e32 v[68:69], v[110:111], v[0:1]
	v_mul_f64 v[0:1], v[112:113], v[0:1]
	v_fma_f64 v[70:71], v[110:111], v[2:3], -v[0:1]
	v_accvgpr_read_b32 v113, a57
	v_accvgpr_read_b32 v112, a56
	;; [unrolled: 1-line block ×4, first 2 shown]
	v_mul_f64 v[36:37], v[112:113], v[40:41]
	v_mul_f64 v[0:1], v[112:113], v[38:39]
	v_fmac_f64_e32 v[36:37], v[110:111], v[38:39]
	v_fma_f64 v[38:39], v[110:111], v[40:41], -v[0:1]
	v_accvgpr_read_b32 v113, a81
	v_accvgpr_read_b32 v112, a80
	;; [unrolled: 1-line block ×4, first 2 shown]
	v_mul_f64 v[136:137], v[112:113], v[44:45]
	v_mul_f64 v[0:1], v[112:113], v[42:43]
	v_fmac_f64_e32 v[136:137], v[110:111], v[42:43]
	v_fma_f64 v[138:139], v[110:111], v[44:45], -v[0:1]
	v_accvgpr_read_b32 v42, a100
	v_accvgpr_read_b32 v44, a102
	;; [unrolled: 1-line block ×5, first 2 shown]
	v_mul_f64 v[40:41], v[44:45], v[56:57]
	v_mul_f64 v[0:1], v[44:45], v[54:55]
	v_accvgpr_read_b32 v112, a32
	v_fmac_f64_e32 v[40:41], v[42:43], v[54:55]
	v_fma_f64 v[42:43], v[42:43], v[56:57], -v[0:1]
	v_accvgpr_read_b32 v111, a31
	v_accvgpr_read_b32 v110, a30
	v_mul_f64 v[56:57], v[112:113], v[60:61]
	v_mul_f64 v[0:1], v[112:113], v[58:59]
	v_fmac_f64_e32 v[56:57], v[110:111], v[58:59]
	v_fma_f64 v[58:59], v[110:111], v[60:61], -v[0:1]
	v_accvgpr_read_b32 v113, a45
	v_accvgpr_read_b32 v112, a44
	;; [unrolled: 1-line block ×4, first 2 shown]
	s_waitcnt lgkmcnt(0)
	v_mul_f64 v[60:61], v[112:113], v[102:103]
	v_mul_f64 v[0:1], v[112:113], v[100:101]
	v_fmac_f64_e32 v[60:61], v[110:111], v[100:101]
	v_fma_f64 v[62:63], v[110:111], v[102:103], -v[0:1]
	v_accvgpr_read_b32 v103, a53
	v_accvgpr_read_b32 v102, a52
	;; [unrolled: 1-line block ×4, first 2 shown]
	v_mul_f64 v[44:45], v[102:103], v[48:49]
	v_mul_f64 v[0:1], v[102:103], v[46:47]
	v_fmac_f64_e32 v[44:45], v[100:101], v[46:47]
	v_fma_f64 v[46:47], v[100:101], v[48:49], -v[0:1]
	v_accvgpr_read_b32 v103, a99
	v_accvgpr_read_b32 v102, a98
	;; [unrolled: 1-line block ×4, first 2 shown]
	v_mul_f64 v[116:117], v[102:103], v[52:53]
	v_fmac_f64_e32 v[116:117], v[100:101], v[50:51]
	v_mul_f64 v[0:1], v[102:103], v[50:51]
	v_accvgpr_read_b32 v48, a88
	v_accvgpr_read_b32 v50, a90
	;; [unrolled: 1-line block ×3, first 2 shown]
	v_fma_f64 v[118:119], v[100:101], v[52:53], -v[0:1]
	v_mul_f64 v[112:113], v[50:51], v[98:99]
	v_mul_f64 v[0:1], v[50:51], v[96:97]
	v_accvgpr_read_b32 v50, a82
	v_accvgpr_read_b32 v49, a89
	;; [unrolled: 1-line block ×4, first 2 shown]
	v_fmac_f64_e32 v[112:113], v[48:49], v[96:97]
	v_fma_f64 v[114:115], v[48:49], v[98:99], -v[0:1]
	v_accvgpr_read_b32 v51, a83
	v_mul_f64 v[48:49], v[52:53], v[6:7]
	v_mul_f64 v[0:1], v[52:53], v[4:5]
	v_fmac_f64_e32 v[48:49], v[50:51], v[4:5]
	v_fma_f64 v[50:51], v[50:51], v[6:7], -v[0:1]
	ds_read_b128 v[0:3], v166 offset:33600
	v_accvgpr_read_b32 v4, a34
	v_accvgpr_read_b32 v6, a36
	;; [unrolled: 1-line block ×4, first 2 shown]
	s_waitcnt lgkmcnt(0)
	v_mul_f64 v[52:53], v[6:7], v[2:3]
	v_fmac_f64_e32 v[52:53], v[4:5], v[0:1]
	v_mul_f64 v[0:1], v[6:7], v[0:1]
	v_fma_f64 v[54:55], v[4:5], v[2:3], -v[0:1]
	ds_read_b128 v[0:3], v166
	v_add_f64 v[4:5], v[104:105], v[76:77]
	v_add_f64 v[110:111], v[122:123], v[126:127]
	ds_read_b128 v[150:153], v166 offset:960
	ds_read_b128 v[158:161], v166 offset:1920
	;; [unrolled: 1-line block ×4, first 2 shown]
	s_waitcnt lgkmcnt(4)
	v_add_f64 v[98:99], v[0:1], v[104:105]
	v_fmac_f64_e32 v[0:1], -0.5, v[4:5]
	v_add_f64 v[4:5], v[106:107], -v[78:79]
	v_fma_f64 v[96:97], s[0:1], v[4:5], v[0:1]
	v_fmac_f64_e32 v[0:1], s[8:9], v[4:5]
	v_add_f64 v[4:5], v[106:107], v[78:79]
	v_add_f64 v[102:103], v[2:3], v[106:107]
	v_fmac_f64_e32 v[2:3], -0.5, v[4:5]
	v_add_f64 v[4:5], v[104:105], -v[76:77]
	v_fma_f64 v[100:101], s[8:9], v[4:5], v[2:3]
	v_fmac_f64_e32 v[2:3], s[0:1], v[4:5]
	v_add_f64 v[4:5], v[108:109], v[84:85]
	;; [unrolled: 6-line block ×3, first 2 shown]
	v_fmac_f64_e32 v[122:123], -0.5, v[4:5]
	v_add_f64 v[4:5], v[108:109], -v[84:85]
	v_fma_f64 v[108:109], s[8:9], v[4:5], v[122:123]
	v_fmac_f64_e32 v[122:123], s[0:1], v[4:5]
	v_mul_f64 v[126:127], v[122:123], s[0:1]
	v_mul_f64 v[122:123], v[122:123], -0.5
	v_fmac_f64_e32 v[126:127], -0.5, v[120:121]
	v_fmac_f64_e32 v[122:123], s[8:9], v[120:121]
	v_add_f64 v[120:121], v[14:15], v[72:73]
	v_add_f64 v[4:5], v[0:1], v[126:127]
	;; [unrolled: 1-line block ×3, first 2 shown]
	v_add_f64 v[0:1], v[0:1], -v[126:127]
	v_add_f64 v[2:3], v[2:3], -v[122:123]
	s_waitcnt lgkmcnt(3)
	v_add_f64 v[122:123], v[150:151], v[14:15]
	v_fmac_f64_e32 v[150:151], -0.5, v[120:121]
	v_add_f64 v[126:127], v[124:125], -v[74:75]
	v_fma_f64 v[120:121], s[0:1], v[126:127], v[150:151]
	v_fmac_f64_e32 v[150:151], s[8:9], v[126:127]
	v_add_f64 v[126:127], v[152:153], v[124:125]
	v_add_f64 v[124:125], v[124:125], v[74:75]
	v_fmac_f64_e32 v[152:153], -0.5, v[124:125]
	v_add_f64 v[14:15], v[14:15], -v[72:73]
	v_fma_f64 v[124:125], s[8:9], v[14:15], v[152:153]
	v_fmac_f64_e32 v[152:153], s[0:1], v[14:15]
	v_add_f64 v[14:15], v[8:9], v[80:81]
	v_fmac_f64_e32 v[24:25], -0.5, v[14:15]
	v_add_f64 v[14:15], v[10:11], -v[82:83]
	v_add_f64 v[10:11], v[10:11], v[82:83]
	v_fmac_f64_e32 v[12:13], -0.5, v[10:11]
	v_add_f64 v[8:9], v[8:9], -v[80:81]
	v_fma_f64 v[132:133], s[8:9], v[8:9], v[12:13]
	v_fmac_f64_e32 v[12:13], s[0:1], v[8:9]
	v_fma_f64 v[128:129], s[0:1], v[14:15], v[24:25]
	v_fmac_f64_e32 v[24:25], s[8:9], v[14:15]
	v_mul_f64 v[8:9], v[12:13], s[0:1]
	v_mul_f64 v[10:11], v[12:13], -0.5
	v_fmac_f64_e32 v[8:9], -0.5, v[24:25]
	v_fmac_f64_e32 v[10:11], s[8:9], v[24:25]
	v_add_f64 v[24:25], v[142:143], v[86:87]
	s_waitcnt lgkmcnt(2)
	v_add_f64 v[154:155], v[158:159], v[142:143]
	v_fmac_f64_e32 v[158:159], -0.5, v[24:25]
	v_add_f64 v[24:25], v[146:147], -v[90:91]
	v_add_f64 v[12:13], v[150:151], v[8:9]
	v_add_f64 v[8:9], v[150:151], -v[8:9]
	v_fma_f64 v[150:151], s[0:1], v[24:25], v[158:159]
	v_fmac_f64_e32 v[158:159], s[8:9], v[24:25]
	v_add_f64 v[24:25], v[146:147], v[90:91]
	v_add_f64 v[162:163], v[160:161], v[146:147]
	v_fmac_f64_e32 v[160:161], -0.5, v[24:25]
	v_add_f64 v[24:25], v[142:143], -v[86:87]
	v_fma_f64 v[156:157], s[8:9], v[24:25], v[160:161]
	v_fmac_f64_e32 v[160:161], s[0:1], v[24:25]
	v_add_f64 v[24:25], v[26:27], v[92:93]
	v_fmac_f64_e32 v[16:17], -0.5, v[24:25]
	v_add_f64 v[24:25], v[140:141], -v[94:95]
	v_fma_f64 v[170:171], s[0:1], v[24:25], v[16:17]
	v_fmac_f64_e32 v[16:17], s[8:9], v[24:25]
	v_add_f64 v[24:25], v[140:141], v[94:95]
	v_fmac_f64_e32 v[18:19], -0.5, v[24:25]
	v_add_f64 v[24:25], v[26:27], -v[92:93]
	v_fma_f64 v[176:177], s[8:9], v[24:25], v[18:19]
	v_fmac_f64_e32 v[18:19], s[0:1], v[24:25]
	v_mul_f64 v[140:141], v[18:19], s[0:1]
	v_fmac_f64_e32 v[140:141], -0.5, v[16:17]
	v_mul_f64 v[18:19], v[18:19], -0.5
	v_fmac_f64_e32 v[18:19], s[8:9], v[16:17]
	v_add_f64 v[24:25], v[158:159], v[140:141]
	v_add_f64 v[16:17], v[158:159], -v[140:141]
	v_add_f64 v[140:141], v[144:145], v[64:65]
	s_waitcnt lgkmcnt(1)
	v_add_f64 v[142:143], v[180:181], v[144:145]
	v_fmac_f64_e32 v[180:181], -0.5, v[140:141]
	v_add_f64 v[146:147], v[148:149], -v[66:67]
	v_fma_f64 v[140:141], s[0:1], v[146:147], v[180:181]
	v_fmac_f64_e32 v[180:181], s[8:9], v[146:147]
	v_add_f64 v[146:147], v[182:183], v[148:149]
	v_add_f64 v[148:149], v[148:149], v[66:67]
	v_fmac_f64_e32 v[182:183], -0.5, v[148:149]
	v_add_f64 v[148:149], v[144:145], -v[64:65]
	v_add_f64 v[26:27], v[160:161], v[18:19]
	v_add_f64 v[18:19], v[160:161], -v[18:19]
	v_fma_f64 v[144:145], s[8:9], v[148:149], v[182:183]
	v_fmac_f64_e32 v[182:183], s[0:1], v[148:149]
	v_add_f64 v[148:149], v[32:33], v[68:69]
	v_add_f64 v[158:159], v[34:35], -v[70:71]
	v_add_f64 v[160:161], v[30:31], v[34:35]
	v_add_f64 v[34:35], v[34:35], v[70:71]
	;; [unrolled: 1-line block ×3, first 2 shown]
	v_add_f64 v[10:11], v[152:153], -v[10:11]
	v_add_f64 v[152:153], v[28:29], v[32:33]
	v_fmac_f64_e32 v[28:29], -0.5, v[148:149]
	v_fmac_f64_e32 v[30:31], -0.5, v[34:35]
	v_add_f64 v[32:33], v[32:33], -v[68:69]
	v_fma_f64 v[148:149], s[0:1], v[158:159], v[28:29]
	v_fmac_f64_e32 v[28:29], s[8:9], v[158:159]
	v_fma_f64 v[158:159], s[8:9], v[32:33], v[30:31]
	v_fmac_f64_e32 v[30:31], s[0:1], v[32:33]
	v_mul_f64 v[168:169], v[30:31], s[0:1]
	v_fmac_f64_e32 v[168:169], -0.5, v[28:29]
	v_mul_f64 v[30:31], v[30:31], -0.5
	v_fmac_f64_e32 v[30:31], s[8:9], v[28:29]
	v_add_f64 v[32:33], v[180:181], v[168:169]
	v_add_f64 v[28:29], v[180:181], -v[168:169]
	v_add_f64 v[168:169], v[136:137], v[56:57]
	s_waitcnt lgkmcnt(0)
	v_add_f64 v[174:175], v[188:189], v[136:137]
	v_fmac_f64_e32 v[188:189], -0.5, v[168:169]
	v_add_f64 v[180:181], v[138:139], -v[58:59]
	v_fma_f64 v[168:169], s[0:1], v[180:181], v[188:189]
	v_fmac_f64_e32 v[188:189], s[8:9], v[180:181]
	v_add_f64 v[180:181], v[190:191], v[138:139]
	v_add_f64 v[138:139], v[138:139], v[58:59]
	v_fmac_f64_e32 v[190:191], -0.5, v[138:139]
	v_add_f64 v[138:139], v[136:137], -v[56:57]
	v_fma_f64 v[136:137], s[8:9], v[138:139], v[190:191]
	v_fmac_f64_e32 v[190:191], s[0:1], v[138:139]
	v_add_f64 v[138:139], v[40:41], v[60:61]
	v_add_f64 v[184:185], v[42:43], -v[62:63]
	v_add_f64 v[186:187], v[38:39], v[42:43]
	v_add_f64 v[42:43], v[42:43], v[62:63]
	;; [unrolled: 1-line block ×3, first 2 shown]
	v_add_f64 v[30:31], v[182:183], -v[30:31]
	v_add_f64 v[182:183], v[36:37], v[40:41]
	v_fmac_f64_e32 v[36:37], -0.5, v[138:139]
	v_fmac_f64_e32 v[38:39], -0.5, v[42:43]
	v_add_f64 v[40:41], v[40:41], -v[60:61]
	v_fma_f64 v[138:139], s[0:1], v[184:185], v[36:37]
	v_fmac_f64_e32 v[36:37], s[8:9], v[184:185]
	v_fma_f64 v[184:185], s[8:9], v[40:41], v[38:39]
	v_fmac_f64_e32 v[38:39], s[0:1], v[40:41]
	v_mul_f64 v[192:193], v[38:39], s[0:1]
	v_fmac_f64_e32 v[192:193], -0.5, v[36:37]
	v_mul_f64 v[38:39], v[38:39], -0.5
	v_fmac_f64_e32 v[38:39], s[8:9], v[36:37]
	v_add_f64 v[40:41], v[188:189], v[192:193]
	v_add_f64 v[36:37], v[188:189], -v[192:193]
	v_add_f64 v[188:189], v[116:117], v[48:49]
	v_add_f64 v[42:43], v[190:191], v[38:39]
	v_add_f64 v[38:39], v[190:191], -v[38:39]
	v_add_f64 v[190:191], v[20:21], v[116:117]
	v_fmac_f64_e32 v[20:21], -0.5, v[188:189]
	v_add_f64 v[192:193], v[118:119], -v[50:51]
	v_fma_f64 v[188:189], s[0:1], v[192:193], v[20:21]
	v_fmac_f64_e32 v[20:21], s[8:9], v[192:193]
	v_add_f64 v[192:193], v[22:23], v[118:119]
	v_add_f64 v[118:119], v[118:119], v[50:51]
	v_fmac_f64_e32 v[22:23], -0.5, v[118:119]
	v_add_f64 v[118:119], v[116:117], -v[48:49]
	v_fma_f64 v[116:117], s[8:9], v[118:119], v[22:23]
	v_fmac_f64_e32 v[22:23], s[0:1], v[118:119]
	v_add_f64 v[118:119], v[112:113], v[52:53]
	v_add_f64 v[194:195], v[44:45], v[112:113]
	v_fmac_f64_e32 v[44:45], -0.5, v[118:119]
	v_add_f64 v[220:221], v[114:115], -v[54:55]
	v_fma_f64 v[118:119], s[0:1], v[220:221], v[44:45]
	v_fmac_f64_e32 v[44:45], s[8:9], v[220:221]
	v_add_f64 v[220:221], v[46:47], v[114:115]
	v_add_f64 v[114:115], v[114:115], v[54:55]
	v_fmac_f64_e32 v[46:47], -0.5, v[114:115]
	v_add_f64 v[114:115], v[112:113], -v[52:53]
	v_fma_f64 v[112:113], s[8:9], v[114:115], v[46:47]
	v_fmac_f64_e32 v[46:47], s[0:1], v[114:115]
	v_mul_f64 v[222:223], v[46:47], -0.5
	v_fmac_f64_e32 v[222:223], s[8:9], v[44:45]
	v_add_f64 v[98:99], v[98:99], v[76:77]
	v_add_f64 v[102:103], v[102:103], v[78:79]
	;; [unrolled: 1-line block ×4, first 2 shown]
	v_mul_f64 v[114:115], v[46:47], s[0:1]
	v_add_f64 v[46:47], v[22:23], v[222:223]
	v_add_f64 v[22:23], v[22:23], -v[222:223]
	v_add_f64 v[76:77], v[98:99], v[84:85]
	v_add_f64 v[78:79], v[102:103], v[88:89]
	v_add_f64 v[222:223], v[98:99], -v[84:85]
	v_add_f64 v[224:225], v[102:103], -v[88:89]
	v_mul_f64 v[84:85], v[108:109], s[0:1]
	v_mul_f64 v[88:89], v[108:109], 0.5
	v_fmac_f64_e32 v[84:85], 0.5, v[104:105]
	v_fmac_f64_e32 v[88:89], s[8:9], v[104:105]
	v_add_f64 v[102:103], v[96:97], v[84:85]
	v_add_f64 v[104:105], v[100:101], v[88:89]
	v_add_f64 v[96:97], v[96:97], -v[84:85]
	v_add_f64 v[98:99], v[100:101], -v[88:89]
	v_add_f64 v[84:85], v[122:123], v[72:73]
	v_add_f64 v[88:89], v[126:127], v[74:75]
	;; [unrolled: 1-line block ×6, first 2 shown]
	v_add_f64 v[80:81], v[84:85], -v[80:81]
	v_add_f64 v[82:83], v[88:89], -v[82:83]
	v_mul_f64 v[84:85], v[132:133], s[0:1]
	v_mul_f64 v[88:89], v[132:133], 0.5
	v_fmac_f64_e32 v[84:85], 0.5, v[128:129]
	v_fmac_f64_e32 v[88:89], s[8:9], v[128:129]
	v_add_f64 v[106:107], v[120:121], v[84:85]
	v_add_f64 v[108:109], v[124:125], v[88:89]
	v_add_f64 v[120:121], v[120:121], -v[84:85]
	v_add_f64 v[122:123], v[124:125], -v[88:89]
	v_add_f64 v[88:89], v[154:155], v[86:87]
	v_add_f64 v[90:91], v[162:163], v[90:91]
	;; [unrolled: 1-line block ×4, first 2 shown]
	v_mul_f64 v[100:101], v[176:177], s[0:1]
	v_mul_f64 v[110:111], v[176:177], 0.5
	s_waitcnt lgkmcnt(0)
	; wave barrier
	ds_write_b128 v166, v[76:79]
	ds_write_b128 v166, v[102:105] offset:960
	ds_write_b128 v166, v[4:7] offset:1920
	;; [unrolled: 1-line block ×11, first 2 shown]
	v_mul_f64 v[12:13], v[158:159], s[0:1]
	v_mul_f64 v[14:15], v[158:159], 0.5
	v_add_f64 v[84:85], v[88:89], v[92:93]
	v_add_f64 v[86:87], v[90:91], v[94:95]
	v_fmac_f64_e32 v[100:101], 0.5, v[170:171]
	v_fmac_f64_e32 v[110:111], s[8:9], v[170:171]
	v_accvgpr_read_b32 v0, a175
	v_add_f64 v[4:5], v[142:143], v[64:65]
	v_add_f64 v[6:7], v[146:147], v[66:67]
	;; [unrolled: 1-line block ×4, first 2 shown]
	v_fmac_f64_e32 v[12:13], 0.5, v[148:149]
	v_fmac_f64_e32 v[14:15], s[8:9], v[148:149]
	v_add_f64 v[88:89], v[88:89], -v[92:93]
	v_add_f64 v[90:91], v[90:91], -v[94:95]
	v_add_f64 v[92:93], v[150:151], v[100:101]
	v_add_f64 v[94:95], v[156:157], v[110:111]
	v_add_f64 v[124:125], v[150:151], -v[100:101]
	v_add_f64 v[126:127], v[156:157], -v[110:111]
	ds_write_b128 v0, v[84:87] offset:11520
	ds_write_b128 v0, v[92:95] offset:12480
	ds_write_b128 v0, v[24:27] offset:13440
	ds_write_b128 v0, v[88:91] offset:14400
	ds_write_b128 v0, v[124:127] offset:15360
	ds_write_b128 v0, v[16:19] offset:16320
	v_add_f64 v[0:1], v[4:5], v[8:9]
	v_add_f64 v[2:3], v[6:7], v[10:11]
	v_add_f64 v[4:5], v[4:5], -v[8:9]
	v_add_f64 v[6:7], v[6:7], -v[10:11]
	v_add_f64 v[8:9], v[140:141], v[12:13]
	v_add_f64 v[10:11], v[144:145], v[14:15]
	v_add_f64 v[12:13], v[140:141], -v[12:13]
	v_add_f64 v[14:15], v[144:145], -v[14:15]
	v_accvgpr_read_b32 v16, a153
	ds_write_b128 v16, v[0:3] offset:17280
	ds_write_b128 v16, v[8:11] offset:18240
	;; [unrolled: 1-line block ×6, first 2 shown]
	v_mul_f64 v[12:13], v[184:185], s[0:1]
	v_mul_f64 v[14:15], v[184:185], 0.5
	v_add_f64 v[4:5], v[174:175], v[56:57]
	v_add_f64 v[6:7], v[180:181], v[58:59]
	;; [unrolled: 1-line block ×4, first 2 shown]
	v_fmac_f64_e32 v[12:13], 0.5, v[138:139]
	v_fmac_f64_e32 v[14:15], s[8:9], v[138:139]
	v_add_f64 v[0:1], v[4:5], v[8:9]
	v_add_f64 v[2:3], v[6:7], v[10:11]
	v_add_f64 v[4:5], v[4:5], -v[8:9]
	v_add_f64 v[6:7], v[6:7], -v[10:11]
	v_add_f64 v[8:9], v[168:169], v[12:13]
	v_add_f64 v[10:11], v[136:137], v[14:15]
	v_add_f64 v[12:13], v[168:169], -v[12:13]
	v_add_f64 v[14:15], v[136:137], -v[14:15]
	v_accvgpr_read_b32 v16, a152
	ds_write_b128 v16, v[0:3] offset:23040
	ds_write_b128 v16, v[8:11] offset:24000
	;; [unrolled: 1-line block ×6, first 2 shown]
	v_add_f64 v[4:5], v[190:191], v[48:49]
	v_add_f64 v[6:7], v[192:193], v[50:51]
	;; [unrolled: 1-line block ×4, first 2 shown]
	v_mul_f64 v[12:13], v[112:113], s[0:1]
	v_mul_f64 v[14:15], v[112:113], 0.5
	v_fmac_f64_e32 v[114:115], -0.5, v[44:45]
	v_add_f64 v[0:1], v[4:5], v[8:9]
	v_add_f64 v[2:3], v[6:7], v[10:11]
	v_add_f64 v[4:5], v[4:5], -v[8:9]
	v_add_f64 v[6:7], v[6:7], -v[10:11]
	v_fmac_f64_e32 v[12:13], 0.5, v[118:119]
	v_fmac_f64_e32 v[14:15], s[8:9], v[118:119]
	v_accvgpr_read_b32 v16, a87
	v_add_f64 v[44:45], v[20:21], v[114:115]
	v_add_f64 v[20:21], v[20:21], -v[114:115]
	v_add_f64 v[8:9], v[188:189], v[12:13]
	v_add_f64 v[10:11], v[116:117], v[14:15]
	v_add_f64 v[12:13], v[188:189], -v[12:13]
	v_add_f64 v[14:15], v[116:117], -v[14:15]
	ds_write_b128 v16, v[0:3] offset:28800
	ds_write_b128 v16, v[8:11] offset:29760
	;; [unrolled: 1-line block ×6, first 2 shown]
	s_waitcnt lgkmcnt(0)
	; wave barrier
	s_waitcnt lgkmcnt(0)
	ds_read_b128 v[4:7], v166 offset:5760
	ds_read_b128 v[0:3], v166 offset:4800
	v_accvgpr_read_b32 v10, a120
	v_accvgpr_read_b32 v12, a122
	v_accvgpr_read_b32 v13, a123
	v_accvgpr_read_b32 v11, a121
	s_waitcnt lgkmcnt(1)
	v_mul_f64 v[8:9], v[12:13], v[6:7]
	v_fmac_f64_e32 v[8:9], v[10:11], v[4:5]
	v_mul_f64 v[4:5], v[12:13], v[4:5]
	v_fma_f64 v[4:5], v[10:11], v[6:7], -v[4:5]
	ds_read_b128 v[10:13], v166 offset:11520
	ds_read_b128 v[88:91], v166 offset:10560
	v_accvgpr_read_b32 v14, a116
	v_accvgpr_read_b32 v16, a118
	v_accvgpr_read_b32 v17, a119
	v_accvgpr_read_b32 v15, a117
	s_waitcnt lgkmcnt(1)
	v_mul_f64 v[6:7], v[16:17], v[12:13]
	v_fmac_f64_e32 v[6:7], v[14:15], v[10:11]
	v_mul_f64 v[10:11], v[16:17], v[10:11]
	v_fma_f64 v[126:127], v[14:15], v[12:13], -v[10:11]
	;; [unrolled: 11-line block ×4, first 2 shown]
	ds_read_b128 v[10:13], v166 offset:28800
	ds_read_b128 v[100:103], v166 offset:27840
	;; [unrolled: 1-line block ×4, first 2 shown]
	v_accvgpr_read_b32 v34, a192
	v_accvgpr_read_b32 v36, a194
	s_waitcnt lgkmcnt(3)
	v_mul_f64 v[52:53], v[214:215], v[12:13]
	v_fmac_f64_e32 v[52:53], v[212:213], v[10:11]
	v_mul_f64 v[10:11], v[214:215], v[10:11]
	v_fma_f64 v[54:55], v[212:213], v[12:13], -v[10:11]
	s_waitcnt lgkmcnt(1)
	v_mul_f64 v[12:13], v[218:219], v[16:17]
	v_mul_f64 v[10:11], v[218:219], v[14:15]
	v_fmac_f64_e32 v[12:13], v[216:217], v[14:15]
	v_fma_f64 v[14:15], v[216:217], v[16:17], -v[10:11]
	ds_read_b128 v[16:19], v166 offset:12480
	ds_read_b128 v[26:29], v166 offset:13440
	v_accvgpr_read_b32 v37, a195
	v_accvgpr_read_b32 v35, a193
	;; [unrolled: 1-line block ×3, first 2 shown]
	s_waitcnt lgkmcnt(1)
	v_mul_f64 v[10:11], v[210:211], v[16:17]
	v_mul_f64 v[124:125], v[210:211], v[18:19]
	v_fma_f64 v[132:133], v[208:209], v[18:19], -v[10:11]
	ds_read_b128 v[18:21], v166 offset:18240
	ds_read_b128 v[30:33], v166 offset:19200
	v_fmac_f64_e32 v[124:125], v[208:209], v[16:17]
	v_accvgpr_read_b32 v44, a150
	v_accvgpr_read_b32 v45, a151
	s_waitcnt lgkmcnt(1)
	v_mul_f64 v[16:17], v[36:37], v[20:21]
	v_mul_f64 v[10:11], v[36:37], v[18:19]
	v_fmac_f64_e32 v[16:17], v[34:35], v[18:19]
	v_fma_f64 v[18:19], v[34:35], v[20:21], -v[10:11]
	ds_read_b128 v[34:37], v166 offset:24000
	ds_read_b128 v[38:41], v166 offset:24960
	v_accvgpr_read_b32 v43, a149
	v_accvgpr_read_b32 v62, a200
	v_accvgpr_read_b32 v64, a202
	s_waitcnt lgkmcnt(1)
	v_mul_f64 v[56:57], v[44:45], v[36:37]
	v_mul_f64 v[10:11], v[44:45], v[34:35]
	v_fmac_f64_e32 v[56:57], v[42:43], v[34:35]
	v_fma_f64 v[58:59], v[42:43], v[36:37], -v[10:11]
	ds_read_b128 v[34:37], v166 offset:29760
	ds_read_b128 v[42:45], v166 offset:30720
	v_accvgpr_read_b32 v65, a203
	v_accvgpr_read_b32 v63, a201
	v_mul_f64 v[20:21], v[206:207], v[24:25]
	s_waitcnt lgkmcnt(1)
	v_mul_f64 v[60:61], v[64:65], v[36:37]
	v_mul_f64 v[10:11], v[64:65], v[34:35]
	v_fmac_f64_e32 v[60:61], v[62:63], v[34:35]
	v_fma_f64 v[62:63], v[62:63], v[36:37], -v[10:11]
	v_mul_f64 v[10:11], v[206:207], v[22:23]
	v_fmac_f64_e32 v[20:21], v[204:205], v[22:23]
	v_fma_f64 v[22:23], v[204:205], v[24:25], -v[10:11]
	v_mul_f64 v[144:145], v[198:199], v[28:29]
	v_mul_f64 v[10:11], v[198:199], v[26:27]
	v_fmac_f64_e32 v[144:145], v[196:197], v[26:27]
	v_fma_f64 v[150:151], v[196:197], v[28:29], -v[10:11]
	v_accvgpr_read_b32 v26, a180
	v_accvgpr_read_b32 v28, a182
	;; [unrolled: 1-line block ×4, first 2 shown]
	v_mul_f64 v[24:25], v[28:29], v[32:33]
	v_fmac_f64_e32 v[24:25], v[26:27], v[30:31]
	v_mul_f64 v[10:11], v[28:29], v[30:31]
	v_accvgpr_read_b32 v28, a140
	v_accvgpr_read_b32 v30, a142
	;; [unrolled: 1-line block ×3, first 2 shown]
	v_fma_f64 v[26:27], v[26:27], v[32:33], -v[10:11]
	v_accvgpr_read_b32 v29, a141
	v_mul_f64 v[64:65], v[30:31], v[40:41]
	v_mul_f64 v[10:11], v[30:31], v[38:39]
	v_fmac_f64_e32 v[64:65], v[28:29], v[38:39]
	v_fma_f64 v[66:67], v[28:29], v[40:41], -v[10:11]
	v_accvgpr_read_b32 v28, a204
	v_accvgpr_read_b32 v30, a206
	;; [unrolled: 1-line block ×3, first 2 shown]
	s_waitcnt lgkmcnt(0)
	v_mul_f64 v[68:69], v[30:31], v[44:45]
	v_mul_f64 v[10:11], v[30:31], v[42:43]
	ds_read_b128 v[30:33], v166 offset:8640
	ds_read_b128 v[38:41], v166 offset:9600
	v_accvgpr_read_b32 v29, a205
	v_fmac_f64_e32 v[68:69], v[28:29], v[42:43]
	v_fma_f64 v[70:71], v[28:29], v[44:45], -v[10:11]
	s_waitcnt lgkmcnt(1)
	v_mul_f64 v[28:29], v[202:203], v[32:33]
	v_mul_f64 v[10:11], v[202:203], v[30:31]
	v_fmac_f64_e32 v[28:29], v[200:201], v[30:31]
	v_fma_f64 v[30:31], v[200:201], v[32:33], -v[10:11]
	ds_read_b128 v[32:35], v166 offset:14400
	ds_read_b128 v[42:45], v166 offset:15360
	v_accvgpr_read_b32 v72, a188
	v_accvgpr_read_b32 v74, a190
	;; [unrolled: 1-line block ×4, first 2 shown]
	s_waitcnt lgkmcnt(1)
	v_mul_f64 v[10:11], v[74:75], v[32:33]
	v_mul_f64 v[148:149], v[74:75], v[34:35]
	v_fma_f64 v[152:153], v[72:73], v[34:35], -v[10:11]
	ds_read_b128 v[34:37], v166 offset:20160
	ds_read_b128 v[80:83], v166 offset:21120
	v_fmac_f64_e32 v[148:149], v[72:73], v[32:33]
	v_accvgpr_read_b32 v72, a144
	v_accvgpr_read_b32 v74, a146
	;; [unrolled: 1-line block ×3, first 2 shown]
	s_waitcnt lgkmcnt(1)
	v_mul_f64 v[32:33], v[74:75], v[36:37]
	v_mul_f64 v[10:11], v[74:75], v[34:35]
	ds_read_b128 v[74:77], v166 offset:25920
	ds_read_b128 v[84:87], v166 offset:26880
	v_accvgpr_read_b32 v107, a73
	v_accvgpr_read_b32 v73, a145
	;; [unrolled: 1-line block ×3, first 2 shown]
	v_fmac_f64_e32 v[32:33], v[72:73], v[34:35]
	v_fma_f64 v[34:35], v[72:73], v[36:37], -v[10:11]
	v_accvgpr_read_b32 v105, a71
	v_accvgpr_read_b32 v104, a70
	s_waitcnt lgkmcnt(1)
	v_mul_f64 v[72:73], v[106:107], v[76:77]
	v_mul_f64 v[10:11], v[106:107], v[74:75]
	v_fmac_f64_e32 v[72:73], v[104:105], v[74:75]
	v_fma_f64 v[74:75], v[104:105], v[76:77], -v[10:11]
	ds_read_b128 v[104:107], v166 offset:31680
	ds_read_b128 v[108:111], v166 offset:32640
	v_accvgpr_read_b32 v112, a158
	v_accvgpr_read_b32 v114, a160
	;; [unrolled: 1-line block ×4, first 2 shown]
	s_waitcnt lgkmcnt(1)
	v_mul_f64 v[76:77], v[114:115], v[106:107]
	v_mul_f64 v[10:11], v[114:115], v[104:105]
	v_fmac_f64_e32 v[76:77], v[112:113], v[104:105]
	v_fma_f64 v[78:79], v[112:113], v[106:107], -v[10:11]
	v_accvgpr_read_b32 v104, a196
	v_accvgpr_read_b32 v106, a198
	v_accvgpr_read_b32 v107, a199
	v_accvgpr_read_b32 v105, a197
	v_mul_f64 v[36:37], v[106:107], v[40:41]
	v_mul_f64 v[10:11], v[106:107], v[38:39]
	v_fmac_f64_e32 v[36:37], v[104:105], v[38:39]
	v_fma_f64 v[38:39], v[104:105], v[40:41], -v[10:11]
	v_accvgpr_read_b32 v104, a166
	v_accvgpr_read_b32 v106, a168
	v_accvgpr_read_b32 v107, a169
	v_accvgpr_read_b32 v105, a167
	v_mul_f64 v[136:137], v[106:107], v[44:45]
	v_mul_f64 v[10:11], v[106:107], v[42:43]
	v_fmac_f64_e32 v[136:137], v[104:105], v[42:43]
	v_fma_f64 v[138:139], v[104:105], v[44:45], -v[10:11]
	v_accvgpr_read_b32 v42, a74
	v_accvgpr_read_b32 v44, a76
	;; [unrolled: 1-line block ×3, first 2 shown]
	v_mul_f64 v[40:41], v[44:45], v[82:83]
	v_mul_f64 v[10:11], v[44:45], v[80:81]
	v_accvgpr_read_b32 v44, a62
	v_accvgpr_read_b32 v43, a75
	;; [unrolled: 1-line block ×4, first 2 shown]
	v_fmac_f64_e32 v[40:41], v[42:43], v[80:81]
	v_fma_f64 v[42:43], v[42:43], v[82:83], -v[10:11]
	v_accvgpr_read_b32 v45, a63
	v_mul_f64 v[80:81], v[46:47], v[86:87]
	v_mul_f64 v[10:11], v[46:47], v[84:85]
	v_fmac_f64_e32 v[80:81], v[44:45], v[84:85]
	v_fma_f64 v[82:83], v[44:45], v[86:87], -v[10:11]
	v_accvgpr_read_b32 v44, a176
	v_accvgpr_read_b32 v46, a178
	;; [unrolled: 1-line block ×5, first 2 shown]
	s_waitcnt lgkmcnt(0)
	v_mul_f64 v[84:85], v[46:47], v[110:111]
	v_mul_f64 v[10:11], v[46:47], v[108:109]
	v_accvgpr_read_b32 v106, a186
	v_accvgpr_read_b32 v107, a187
	v_fmac_f64_e32 v[84:85], v[44:45], v[108:109]
	v_fma_f64 v[86:87], v[44:45], v[110:111], -v[10:11]
	v_accvgpr_read_b32 v105, a185
	v_mul_f64 v[44:45], v[106:107], v[90:91]
	v_mul_f64 v[10:11], v[106:107], v[88:89]
	v_fmac_f64_e32 v[44:45], v[104:105], v[88:89]
	v_fma_f64 v[46:47], v[104:105], v[90:91], -v[10:11]
	v_accvgpr_read_b32 v88, a170
	v_accvgpr_read_b32 v90, a172
	;; [unrolled: 1-line block ×4, first 2 shown]
	v_mul_f64 v[116:117], v[90:91], v[94:95]
	v_mul_f64 v[10:11], v[90:91], v[92:93]
	v_fmac_f64_e32 v[116:117], v[88:89], v[92:93]
	v_fma_f64 v[118:119], v[88:89], v[94:95], -v[10:11]
	v_accvgpr_read_b32 v88, a154
	v_accvgpr_read_b32 v90, a156
	;; [unrolled: 1-line block ×4, first 2 shown]
	v_mul_f64 v[112:113], v[90:91], v[98:99]
	v_fmac_f64_e32 v[112:113], v[88:89], v[96:97]
	v_mul_f64 v[10:11], v[90:91], v[96:97]
	v_accvgpr_read_b32 v93, a69
	ds_read_b128 v[94:97], v166 offset:33600
	ds_read_b128 v[120:123], v166
	v_accvgpr_read_b32 v92, a68
	v_fma_f64 v[114:115], v[88:89], v[98:99], -v[10:11]
	v_accvgpr_read_b32 v91, a67
	v_accvgpr_read_b32 v90, a66
	v_mul_f64 v[88:89], v[92:93], v[102:103]
	v_fmac_f64_e32 v[88:89], v[90:91], v[100:101]
	v_mul_f64 v[10:11], v[92:93], v[100:101]
	v_accvgpr_read_b32 v98, a162
	v_accvgpr_read_b32 v100, a164
	;; [unrolled: 1-line block ×3, first 2 shown]
	v_fma_f64 v[90:91], v[90:91], v[102:103], -v[10:11]
	v_accvgpr_read_b32 v99, a163
	s_waitcnt lgkmcnt(1)
	v_mul_f64 v[92:93], v[100:101], v[96:97]
	v_mul_f64 v[10:11], v[100:101], v[94:95]
	v_fmac_f64_e32 v[92:93], v[98:99], v[94:95]
	v_fma_f64 v[94:95], v[98:99], v[96:97], -v[10:11]
	v_add_f64 v[10:11], v[6:7], v[48:49]
	s_waitcnt lgkmcnt(0)
	v_add_f64 v[98:99], v[120:121], v[6:7]
	v_fmac_f64_e32 v[120:121], -0.5, v[10:11]
	v_add_f64 v[10:11], v[126:127], -v[50:51]
	v_fma_f64 v[96:97], s[0:1], v[10:11], v[120:121]
	v_fmac_f64_e32 v[120:121], s[8:9], v[10:11]
	v_add_f64 v[10:11], v[126:127], v[50:51]
	v_add_f64 v[102:103], v[122:123], v[126:127]
	v_fmac_f64_e32 v[122:123], -0.5, v[10:11]
	v_add_f64 v[6:7], v[6:7], -v[48:49]
	v_fma_f64 v[100:101], s[8:9], v[6:7], v[122:123]
	v_fmac_f64_e32 v[122:123], s[0:1], v[6:7]
	v_add_f64 v[6:7], v[128:129], v[52:53]
	;; [unrolled: 6-line block ×3, first 2 shown]
	v_add_f64 v[110:111], v[4:5], v[130:131]
	v_fmac_f64_e32 v[4:5], -0.5, v[6:7]
	v_add_f64 v[6:7], v[128:129], -v[52:53]
	v_fma_f64 v[108:109], s[8:9], v[6:7], v[4:5]
	v_fmac_f64_e32 v[4:5], s[0:1], v[6:7]
	ds_read_b128 v[140:143], v166 offset:960
	ds_read_b128 v[160:163], v166 offset:1920
	v_mul_f64 v[6:7], v[4:5], s[0:1]
	v_fmac_f64_e32 v[6:7], -0.5, v[8:9]
	v_mul_f64 v[126:127], v[4:5], -0.5
	v_fmac_f64_e32 v[126:127], s[8:9], v[8:9]
	v_add_f64 v[8:9], v[120:121], v[6:7]
	v_add_f64 v[4:5], v[120:121], -v[6:7]
	v_add_f64 v[120:121], v[124:125], v[56:57]
	v_add_f64 v[10:11], v[122:123], v[126:127]
	v_add_f64 v[6:7], v[122:123], -v[126:127]
	s_waitcnt lgkmcnt(1)
	v_add_f64 v[122:123], v[140:141], v[124:125]
	v_fmac_f64_e32 v[140:141], -0.5, v[120:121]
	v_add_f64 v[126:127], v[132:133], -v[58:59]
	v_add_f64 v[128:129], v[132:133], v[58:59]
	v_fma_f64 v[120:121], s[0:1], v[126:127], v[140:141]
	v_fmac_f64_e32 v[140:141], s[8:9], v[126:127]
	v_add_f64 v[126:127], v[142:143], v[132:133]
	v_fmac_f64_e32 v[142:143], -0.5, v[128:129]
	v_add_f64 v[128:129], v[124:125], -v[56:57]
	v_fma_f64 v[124:125], s[8:9], v[128:129], v[142:143]
	v_fmac_f64_e32 v[142:143], s[0:1], v[128:129]
	v_add_f64 v[128:129], v[16:17], v[60:61]
	v_add_f64 v[132:133], v[18:19], -v[62:63]
	v_add_f64 v[134:135], v[14:15], v[18:19]
	v_add_f64 v[18:19], v[18:19], v[62:63]
	;; [unrolled: 1-line block ×3, first 2 shown]
	v_fmac_f64_e32 v[12:13], -0.5, v[128:129]
	v_fmac_f64_e32 v[14:15], -0.5, v[18:19]
	v_add_f64 v[16:17], v[16:17], -v[60:61]
	v_fma_f64 v[128:129], s[0:1], v[132:133], v[12:13]
	v_fmac_f64_e32 v[12:13], s[8:9], v[132:133]
	v_fma_f64 v[132:133], s[8:9], v[16:17], v[14:15]
	v_fmac_f64_e32 v[14:15], s[0:1], v[16:17]
	v_mul_f64 v[146:147], v[14:15], s[0:1]
	v_fmac_f64_e32 v[146:147], -0.5, v[12:13]
	v_mul_f64 v[14:15], v[14:15], -0.5
	v_fmac_f64_e32 v[14:15], s[8:9], v[12:13]
	v_add_f64 v[16:17], v[140:141], v[146:147]
	v_add_f64 v[12:13], v[140:141], -v[146:147]
	v_add_f64 v[140:141], v[144:145], v[64:65]
	v_add_f64 v[18:19], v[142:143], v[14:15]
	v_add_f64 v[14:15], v[142:143], -v[14:15]
	s_waitcnt lgkmcnt(0)
	v_add_f64 v[142:143], v[160:161], v[144:145]
	v_fmac_f64_e32 v[160:161], -0.5, v[140:141]
	v_add_f64 v[146:147], v[150:151], -v[66:67]
	v_fma_f64 v[140:141], s[0:1], v[146:147], v[160:161]
	v_fmac_f64_e32 v[160:161], s[8:9], v[146:147]
	v_add_f64 v[146:147], v[162:163], v[150:151]
	v_add_f64 v[150:151], v[150:151], v[66:67]
	v_fmac_f64_e32 v[162:163], -0.5, v[150:151]
	v_add_f64 v[150:151], v[144:145], -v[64:65]
	v_fma_f64 v[144:145], s[8:9], v[150:151], v[162:163]
	v_fmac_f64_e32 v[162:163], s[0:1], v[150:151]
	v_add_f64 v[150:151], v[24:25], v[68:69]
	v_add_f64 v[156:157], v[26:27], -v[70:71]
	v_add_f64 v[158:159], v[22:23], v[26:27]
	v_add_f64 v[26:27], v[26:27], v[70:71]
	;; [unrolled: 1-line block ×3, first 2 shown]
	v_fmac_f64_e32 v[20:21], -0.5, v[150:151]
	v_fmac_f64_e32 v[22:23], -0.5, v[26:27]
	v_add_f64 v[24:25], v[24:25], -v[68:69]
	v_fma_f64 v[150:151], s[0:1], v[156:157], v[20:21]
	v_fmac_f64_e32 v[20:21], s[8:9], v[156:157]
	v_fma_f64 v[156:157], s[8:9], v[24:25], v[22:23]
	v_fmac_f64_e32 v[22:23], s[0:1], v[24:25]
	ds_read_b128 v[176:179], v166 offset:2880
	ds_read_b128 v[180:183], v166 offset:3840
	v_mul_f64 v[168:169], v[22:23], s[0:1]
	v_fmac_f64_e32 v[168:169], -0.5, v[20:21]
	v_mul_f64 v[22:23], v[22:23], -0.5
	v_fmac_f64_e32 v[22:23], s[8:9], v[20:21]
	v_add_f64 v[24:25], v[160:161], v[168:169]
	v_add_f64 v[20:21], v[160:161], -v[168:169]
	v_add_f64 v[160:161], v[148:149], v[72:73]
	v_add_f64 v[26:27], v[162:163], v[22:23]
	v_add_f64 v[22:23], v[162:163], -v[22:23]
	s_waitcnt lgkmcnt(1)
	v_add_f64 v[162:163], v[176:177], v[148:149]
	v_fmac_f64_e32 v[176:177], -0.5, v[160:161]
	v_add_f64 v[168:169], v[152:153], -v[74:75]
	v_fma_f64 v[160:161], s[0:1], v[168:169], v[176:177]
	v_fmac_f64_e32 v[176:177], s[8:9], v[168:169]
	v_add_f64 v[168:169], v[178:179], v[152:153]
	v_add_f64 v[152:153], v[152:153], v[74:75]
	v_fmac_f64_e32 v[178:179], -0.5, v[152:153]
	v_add_f64 v[152:153], v[148:149], -v[72:73]
	v_fma_f64 v[148:149], s[8:9], v[152:153], v[178:179]
	v_fmac_f64_e32 v[178:179], s[0:1], v[152:153]
	v_add_f64 v[152:153], v[32:33], v[76:77]
	v_add_f64 v[172:173], v[34:35], -v[78:79]
	v_add_f64 v[174:175], v[30:31], v[34:35]
	v_add_f64 v[34:35], v[34:35], v[78:79]
	;; [unrolled: 1-line block ×3, first 2 shown]
	v_fmac_f64_e32 v[28:29], -0.5, v[152:153]
	v_fmac_f64_e32 v[30:31], -0.5, v[34:35]
	v_add_f64 v[32:33], v[32:33], -v[76:77]
	v_fma_f64 v[152:153], s[0:1], v[172:173], v[28:29]
	v_fmac_f64_e32 v[28:29], s[8:9], v[172:173]
	v_fma_f64 v[172:173], s[8:9], v[32:33], v[30:31]
	v_fmac_f64_e32 v[30:31], s[0:1], v[32:33]
	v_mul_f64 v[184:185], v[30:31], s[0:1]
	v_mul_f64 v[30:31], v[30:31], -0.5
	v_fmac_f64_e32 v[30:31], s[8:9], v[28:29]
	v_fmac_f64_e32 v[184:185], -0.5, v[28:29]
	v_add_f64 v[34:35], v[178:179], v[30:31]
	v_add_f64 v[30:31], v[178:179], -v[30:31]
	v_add_f64 v[178:179], v[136:137], v[80:81]
	v_add_f64 v[32:33], v[176:177], v[184:185]
	v_add_f64 v[28:29], v[176:177], -v[184:185]
	s_waitcnt lgkmcnt(0)
	v_add_f64 v[176:177], v[180:181], v[136:137]
	v_fmac_f64_e32 v[180:181], -0.5, v[178:179]
	v_add_f64 v[178:179], v[138:139], -v[82:83]
	v_fma_f64 v[184:185], s[0:1], v[178:179], v[180:181]
	v_fmac_f64_e32 v[180:181], s[8:9], v[178:179]
	v_add_f64 v[178:179], v[182:183], v[138:139]
	v_add_f64 v[138:139], v[138:139], v[82:83]
	v_fmac_f64_e32 v[182:183], -0.5, v[138:139]
	v_add_f64 v[136:137], v[136:137], -v[80:81]
	v_add_f64 v[186:187], v[40:41], v[84:85]
	v_fma_f64 v[138:139], s[8:9], v[136:137], v[182:183]
	v_fmac_f64_e32 v[182:183], s[0:1], v[136:137]
	v_add_f64 v[136:137], v[36:37], v[40:41]
	v_fmac_f64_e32 v[36:37], -0.5, v[186:187]
	v_add_f64 v[186:187], v[42:43], -v[86:87]
	v_fma_f64 v[188:189], s[0:1], v[186:187], v[36:37]
	v_fmac_f64_e32 v[36:37], s[8:9], v[186:187]
	v_add_f64 v[186:187], v[38:39], v[42:43]
	v_add_f64 v[42:43], v[42:43], v[86:87]
	v_fmac_f64_e32 v[38:39], -0.5, v[42:43]
	v_add_f64 v[40:41], v[40:41], -v[84:85]
	v_fma_f64 v[190:191], s[8:9], v[40:41], v[38:39]
	v_fmac_f64_e32 v[38:39], s[0:1], v[40:41]
	v_mul_f64 v[192:193], v[38:39], s[0:1]
	v_mul_f64 v[38:39], v[38:39], -0.5
	v_fmac_f64_e32 v[38:39], s[8:9], v[36:37]
	v_fmac_f64_e32 v[192:193], -0.5, v[36:37]
	v_add_f64 v[42:43], v[182:183], v[38:39]
	v_add_f64 v[38:39], v[182:183], -v[38:39]
	v_add_f64 v[182:183], v[116:117], v[88:89]
	v_add_f64 v[40:41], v[180:181], v[192:193]
	v_add_f64 v[36:37], v[180:181], -v[192:193]
	v_add_f64 v[180:181], v[0:1], v[116:117]
	v_fmac_f64_e32 v[0:1], -0.5, v[182:183]
	v_add_f64 v[182:183], v[118:119], -v[90:91]
	v_fma_f64 v[192:193], s[0:1], v[182:183], v[0:1]
	v_fmac_f64_e32 v[0:1], s[8:9], v[182:183]
	v_add_f64 v[182:183], v[2:3], v[118:119]
	v_add_f64 v[118:119], v[118:119], v[90:91]
	;; [unrolled: 1-line block ×4, first 2 shown]
	v_fmac_f64_e32 v[2:3], -0.5, v[118:119]
	v_add_f64 v[116:117], v[116:117], -v[88:89]
	v_add_f64 v[48:49], v[98:99], v[52:53]
	v_add_f64 v[52:53], v[98:99], -v[52:53]
	v_mul_f64 v[98:99], v[108:109], s[0:1]
	v_mul_f64 v[106:107], v[108:109], 0.5
	v_fma_f64 v[194:195], s[8:9], v[116:117], v[2:3]
	v_fmac_f64_e32 v[2:3], s[0:1], v[116:117]
	v_add_f64 v[116:117], v[112:113], v[92:93]
	v_add_f64 v[102:103], v[102:103], v[50:51]
	;; [unrolled: 1-line block ×3, first 2 shown]
	v_fmac_f64_e32 v[98:99], 0.5, v[104:105]
	v_fmac_f64_e32 v[106:107], s[8:9], v[104:105]
	v_add_f64 v[196:197], v[44:45], v[112:113]
	v_fmac_f64_e32 v[44:45], -0.5, v[116:117]
	v_add_f64 v[116:117], v[114:115], -v[94:95]
	v_add_f64 v[200:201], v[46:47], v[114:115]
	v_add_f64 v[114:115], v[114:115], v[94:95]
	v_add_f64 v[50:51], v[102:103], v[54:55]
	v_add_f64 v[54:55], v[102:103], -v[54:55]
	v_add_f64 v[102:103], v[96:97], v[98:99]
	v_add_f64 v[104:105], v[100:101], v[106:107]
	v_add_f64 v[96:97], v[96:97], -v[98:99]
	v_add_f64 v[98:99], v[100:101], -v[106:107]
	v_add_f64 v[100:101], v[122:123], v[56:57]
	v_add_f64 v[60:61], v[130:131], v[60:61]
	v_fmac_f64_e32 v[46:47], -0.5, v[114:115]
	v_add_f64 v[112:113], v[112:113], -v[92:93]
	v_add_f64 v[56:57], v[100:101], v[60:61]
	v_add_f64 v[60:61], v[100:101], -v[60:61]
	v_mul_f64 v[100:101], v[132:133], s[0:1]
	v_fma_f64 v[202:203], s[8:9], v[112:113], v[46:47]
	v_fmac_f64_e32 v[46:47], s[0:1], v[112:113]
	v_add_f64 v[106:107], v[126:127], v[58:59]
	v_add_f64 v[62:63], v[134:135], v[62:63]
	v_fmac_f64_e32 v[100:101], 0.5, v[128:129]
	v_fma_f64 v[198:199], s[0:1], v[116:117], v[44:45]
	v_fmac_f64_e32 v[44:45], s[8:9], v[116:117]
	v_mul_f64 v[114:115], v[46:47], -0.5
	v_add_f64 v[58:59], v[106:107], v[62:63]
	v_add_f64 v[62:63], v[106:107], -v[62:63]
	v_add_f64 v[106:107], v[120:121], v[100:101]
	v_add_f64 v[110:111], v[120:121], -v[100:101]
	v_add_f64 v[100:101], v[142:143], v[64:65]
	v_add_f64 v[68:69], v[154:155], v[68:69]
	v_fmac_f64_e32 v[114:115], s[8:9], v[44:45]
	v_add_f64 v[64:65], v[100:101], v[68:69]
	v_add_f64 v[68:69], v[100:101], -v[68:69]
	v_mul_f64 v[100:101], v[156:157], s[0:1]
	v_mul_f64 v[112:113], v[46:47], s[0:1]
	v_add_f64 v[46:47], v[2:3], v[114:115]
	v_add_f64 v[2:3], v[2:3], -v[114:115]
	v_add_f64 v[114:115], v[146:147], v[66:67]
	v_add_f64 v[70:71], v[158:159], v[70:71]
	v_fmac_f64_e32 v[100:101], 0.5, v[150:151]
	v_add_f64 v[66:67], v[114:115], v[70:71]
	v_add_f64 v[70:71], v[114:115], -v[70:71]
	v_add_f64 v[114:115], v[140:141], v[100:101]
	v_add_f64 v[118:119], v[140:141], -v[100:101]
	v_add_f64 v[100:101], v[162:163], v[72:73]
	v_add_f64 v[76:77], v[170:171], v[76:77]
	;; [unrolled: 1-line block ×3, first 2 shown]
	v_add_f64 v[76:77], v[100:101], -v[76:77]
	v_mul_f64 v[100:101], v[172:173], s[0:1]
	v_add_f64 v[122:123], v[168:169], v[74:75]
	v_add_f64 v[78:79], v[174:175], v[78:79]
	v_fmac_f64_e32 v[100:101], 0.5, v[152:153]
	v_add_f64 v[74:75], v[122:123], v[78:79]
	v_add_f64 v[78:79], v[122:123], -v[78:79]
	v_add_f64 v[122:123], v[160:161], v[100:101]
	v_add_f64 v[126:127], v[160:161], -v[100:101]
	v_add_f64 v[100:101], v[176:177], v[80:81]
	v_add_f64 v[84:85], v[136:137], v[84:85]
	;; [unrolled: 1-line block ×3, first 2 shown]
	v_add_f64 v[84:85], v[100:101], -v[84:85]
	v_mul_f64 v[100:101], v[190:191], s[0:1]
	v_fmac_f64_e32 v[112:113], -0.5, v[44:45]
	v_mul_f64 v[120:121], v[156:157], 0.5
	v_add_f64 v[130:131], v[178:179], v[82:83]
	v_add_f64 v[86:87], v[186:187], v[86:87]
	v_fmac_f64_e32 v[100:101], 0.5, v[188:189]
	v_add_f64 v[44:45], v[0:1], v[112:113]
	v_add_f64 v[0:1], v[0:1], -v[112:113]
	v_mul_f64 v[112:113], v[132:133], 0.5
	v_fmac_f64_e32 v[120:121], s[8:9], v[150:151]
	v_add_f64 v[82:83], v[130:131], v[86:87]
	v_add_f64 v[86:87], v[130:131], -v[86:87]
	v_mul_f64 v[136:137], v[190:191], 0.5
	v_add_f64 v[130:131], v[184:185], v[100:101]
	v_add_f64 v[134:135], v[184:185], -v[100:101]
	v_add_f64 v[100:101], v[180:181], v[88:89]
	v_add_f64 v[92:93], v[196:197], v[92:93]
	v_fmac_f64_e32 v[112:113], s[8:9], v[128:129]
	v_add_f64 v[116:117], v[144:145], v[120:121]
	v_add_f64 v[120:121], v[144:145], -v[120:121]
	v_mul_f64 v[128:129], v[172:173], 0.5
	v_fmac_f64_e32 v[136:137], s[8:9], v[188:189]
	v_add_f64 v[88:89], v[100:101], v[92:93]
	v_add_f64 v[92:93], v[100:101], -v[92:93]
	v_mul_f64 v[100:101], v[202:203], s[0:1]
	v_mul_f64 v[144:145], v[202:203], 0.5
	v_add_f64 v[108:109], v[124:125], v[112:113]
	v_fmac_f64_e32 v[128:129], s[8:9], v[152:153]
	v_add_f64 v[132:133], v[138:139], v[136:137]
	v_add_f64 v[136:137], v[138:139], -v[136:137]
	v_add_f64 v[138:139], v[182:183], v[90:91]
	v_add_f64 v[94:95], v[200:201], v[94:95]
	v_fmac_f64_e32 v[100:101], 0.5, v[198:199]
	v_fmac_f64_e32 v[144:145], s[8:9], v[198:199]
	v_add_f64 v[112:113], v[124:125], -v[112:113]
	v_add_f64 v[124:125], v[148:149], v[128:129]
	v_add_f64 v[128:129], v[148:149], -v[128:129]
	v_add_f64 v[90:91], v[138:139], v[94:95]
	;; [unrolled: 2-line block ×3, first 2 shown]
	v_add_f64 v[140:141], v[194:195], v[144:145]
	v_add_f64 v[142:143], v[192:193], -v[100:101]
	v_add_f64 v[144:145], v[194:195], -v[144:145]
	ds_write_b128 v166, v[48:51]
	ds_write_b128 v166, v[102:105] offset:5760
	ds_write_b128 v166, v[8:11] offset:11520
	;; [unrolled: 1-line block ×35, first 2 shown]
	s_waitcnt lgkmcnt(0)
	; wave barrier
	s_waitcnt lgkmcnt(0)
	scratch_load_dwordx4 v[14:17], off, off ; 16-byte Folded Reload
	scratch_load_dwordx4 v[22:25], off, off offset:16 ; 16-byte Folded Reload
	scratch_load_dwordx4 v[18:21], off, off offset:56 ; 16-byte Folded Reload
	scratch_load_dwordx4 v[38:41], off, off offset:72 ; 16-byte Folded Reload
	scratch_load_dwordx4 v[26:29], off, off offset:120 ; 16-byte Folded Reload
	scratch_load_dwordx4 v[42:45], off, off offset:136 ; 16-byte Folded Reload
	scratch_load_dwordx4 v[30:33], off, off offset:104 ; 16-byte Folded Reload
	scratch_load_dwordx4 v[34:37], off, off offset:88 ; 16-byte Folded Reload
	ds_read_b128 v[0:3], v166
	v_accvgpr_read_b32 v6, a86
	v_mad_u64_u32 v[10:11], s[0:1], s6, v6, 0
	v_mov_b32_e32 v4, v11
	v_mad_u64_u32 v[4:5], s[0:1], s7, v6, v[4:5]
	v_mov_b32_e32 v11, v4
	ds_read_b128 v[4:7], v166 offset:33024
	s_mov_b32 s0, 0xc901e574
	v_mov_b32_e32 v8, s2
	v_mov_b32_e32 v9, s3
	s_mov_b32 s1, 0x3f3e573a
	v_lshl_add_u64 v[52:53], v[10:11], 4, v[8:9]
	ds_read_b128 v[8:11], v166 offset:4416
	scratch_load_dwordx4 v[58:61], off, off offset:248 ; 16-byte Folded Reload
	scratch_load_dwordx4 v[54:57], off, off offset:200 ; 16-byte Folded Reload
	s_waitcnt vmcnt(9) lgkmcnt(2)
	v_mul_f64 v[12:13], v[16:17], v[2:3]
	v_fmac_f64_e32 v[12:13], v[14:15], v[0:1]
	v_mul_f64 v[0:1], v[16:17], v[0:1]
	v_fma_f64 v[0:1], v[14:15], v[2:3], -v[0:1]
	v_accvgpr_read_b32 v2, a0
	v_mad_u64_u32 v[16:17], s[2:3], s4, v2, 0
	v_mul_f64 v[14:15], v[0:1], s[0:1]
	v_mov_b32_e32 v0, v17
	v_mad_u64_u32 v[0:1], s[2:3], s5, v2, v[0:1]
	v_mov_b32_e32 v17, v0
	ds_read_b128 v[0:3], v166 offset:3456
	v_mul_f64 v[12:13], v[12:13], s[0:1]
	v_lshl_add_u64 v[16:17], v[16:17], 4, v[52:53]
	global_store_dwordx4 v[16:17], v[12:15], off
	s_mul_i32 s2, s5, 0xd8
	s_mul_hi_u32 s3, s4, 0xd8
	s_waitcnt vmcnt(8) lgkmcnt(0)
	v_mul_f64 v[12:13], v[20:21], v[2:3]
	v_fmac_f64_e32 v[12:13], v[18:19], v[0:1]
	v_mul_f64 v[0:1], v[20:21], v[0:1]
	v_fma_f64 v[0:1], v[18:19], v[2:3], -v[0:1]
	v_mul_f64 v[14:15], v[0:1], s[0:1]
	ds_read_b128 v[0:3], v166 offset:6912
	s_add_i32 s3, s3, s2
	s_mul_i32 s2, s4, 0xd8
	s_lshl_b64 s[2:3], s[2:3], 4
	v_mul_f64 v[12:13], v[12:13], s[0:1]
	v_lshl_add_u64 v[20:21], v[16:17], 0, s[2:3]
	global_store_dwordx4 v[20:21], v[12:15], off
	ds_read_b128 v[12:15], v166 offset:5376
	s_waitcnt lgkmcnt(1)
	v_mul_f64 v[16:17], v[24:25], v[2:3]
	v_fmac_f64_e32 v[16:17], v[22:23], v[0:1]
	v_mul_f64 v[0:1], v[24:25], v[0:1]
	v_fma_f64 v[18:19], v[22:23], v[2:3], -v[0:1]
	ds_read_b128 v[0:3], v166 offset:10368
	v_mul_f64 v[16:17], v[16:17], s[0:1]
	v_mul_f64 v[18:19], v[18:19], s[0:1]
	v_lshl_add_u64 v[24:25], v[20:21], 0, s[2:3]
	global_store_dwordx4 v[24:25], v[16:19], off
	ds_read_b128 v[16:19], v166 offset:11328
	s_waitcnt vmcnt(8) lgkmcnt(1)
	v_mul_f64 v[20:21], v[28:29], v[2:3]
	v_fmac_f64_e32 v[20:21], v[26:27], v[0:1]
	v_mul_f64 v[0:1], v[28:29], v[0:1]
	v_fma_f64 v[22:23], v[26:27], v[2:3], -v[0:1]
	ds_read_b128 v[0:3], v166 offset:13824
	v_mul_f64 v[20:21], v[20:21], s[0:1]
	v_mul_f64 v[22:23], v[22:23], s[0:1]
	v_lshl_add_u64 v[28:29], v[24:25], 0, s[2:3]
	global_store_dwordx4 v[28:29], v[20:23], off
	ds_read_b128 v[20:23], v166 offset:12288
	s_waitcnt vmcnt(7) lgkmcnt(1)
	;; [unrolled: 11-line block ×3, first 2 shown]
	v_mul_f64 v[28:29], v[36:37], v[2:3]
	v_fmac_f64_e32 v[28:29], v[34:35], v[0:1]
	v_mul_f64 v[0:1], v[36:37], v[0:1]
	v_fma_f64 v[30:31], v[34:35], v[2:3], -v[0:1]
	ds_read_b128 v[0:3], v166 offset:20736
	v_mul_f64 v[28:29], v[28:29], s[0:1]
	v_mul_f64 v[30:31], v[30:31], s[0:1]
	v_lshl_add_u64 v[36:37], v[32:33], 0, s[2:3]
	global_store_dwordx4 v[36:37], v[28:31], off
	ds_read_b128 v[28:31], v166 offset:19200
	s_waitcnt lgkmcnt(1)
	v_mul_f64 v[32:33], v[40:41], v[2:3]
	v_fmac_f64_e32 v[32:33], v[38:39], v[0:1]
	v_mul_f64 v[0:1], v[40:41], v[0:1]
	v_fma_f64 v[34:35], v[38:39], v[2:3], -v[0:1]
	ds_read_b128 v[0:3], v166 offset:24192
	v_mul_f64 v[32:33], v[32:33], s[0:1]
	v_mul_f64 v[34:35], v[34:35], s[0:1]
	v_lshl_add_u64 v[40:41], v[36:37], 0, s[2:3]
	global_store_dwordx4 v[40:41], v[32:35], off
	ds_read_b128 v[32:35], v166 offset:25152
	s_waitcnt lgkmcnt(1)
	v_mul_f64 v[36:37], v[44:45], v[2:3]
	v_fmac_f64_e32 v[36:37], v[42:43], v[0:1]
	v_mul_f64 v[0:1], v[44:45], v[0:1]
	v_fma_f64 v[38:39], v[42:43], v[2:3], -v[0:1]
	scratch_load_dwordx4 v[42:45], off, off offset:280 ; 16-byte Folded Reload
	ds_read_b128 v[0:3], v166 offset:27648
	v_mul_f64 v[36:37], v[36:37], s[0:1]
	v_mul_f64 v[38:39], v[38:39], s[0:1]
	v_lshl_add_u64 v[48:49], v[40:41], 0, s[2:3]
	global_store_dwordx4 v[48:49], v[36:39], off
	ds_read_b128 v[36:39], v166 offset:26112
	s_waitcnt vmcnt(1) lgkmcnt(1)
	v_mul_f64 v[40:41], v[44:45], v[2:3]
	v_fmac_f64_e32 v[40:41], v[42:43], v[0:1]
	v_mul_f64 v[0:1], v[44:45], v[0:1]
	v_fma_f64 v[0:1], v[42:43], v[2:3], -v[0:1]
	v_mul_f64 v[42:43], v[0:1], s[0:1]
	scratch_load_dword v1, off, off offset:32 ; 4-byte Folded Reload
	v_mul_f64 v[40:41], v[40:41], s[0:1]
	s_waitcnt vmcnt(0)
	v_mad_u64_u32 v[44:45], s[6:7], s4, v1, 0
	v_mov_b32_e32 v0, v45
	v_mad_u64_u32 v[46:47], s[6:7], s5, v1, v[0:1]
	ds_read_b128 v[0:3], v166 offset:31104
	v_mov_b32_e32 v45, v46
	v_lshl_add_u64 v[44:45], v[44:45], 4, v[52:53]
	global_store_dwordx4 v[44:45], v[40:43], off
	ds_read_b128 v[40:43], v166 offset:32064
	s_waitcnt lgkmcnt(1)
	v_mul_f64 v[44:45], v[56:57], v[2:3]
	v_fmac_f64_e32 v[44:45], v[54:55], v[0:1]
	v_mul_f64 v[0:1], v[56:57], v[0:1]
	v_fma_f64 v[0:1], v[54:55], v[2:3], -v[0:1]
	v_mul_f64 v[46:47], v[0:1], s[0:1]
	ds_read_b128 v[0:3], v166 offset:960
	v_mov_b32_e32 v56, 0x1b00
	v_mad_u64_u32 v[54:55], s[6:7], s4, v56, v[48:49]
	v_mul_f64 v[44:45], v[44:45], s[0:1]
	v_add_u32_e32 v55, s10, v55
	s_mul_hi_u32 s7, s4, 0xfffff8a4
	global_store_dwordx4 v[54:55], v[44:47], off
	ds_read_b128 v[44:47], v166 offset:1920
	s_waitcnt lgkmcnt(1)
	v_mul_f64 v[48:49], v[60:61], v[2:3]
	s_mul_i32 s6, s5, 0xfffff8a4
	s_sub_i32 s7, s7, s4
	v_fmac_f64_e32 v[48:49], v[58:59], v[0:1]
	v_mul_f64 v[0:1], v[60:61], v[0:1]
	s_add_i32 s7, s7, s6
	s_mul_i32 s6, s4, 0xfffff8a4
	v_fma_f64 v[0:1], v[58:59], v[2:3], -v[0:1]
	s_lshl_b64 s[8:9], s[6:7], 4
	v_mul_f64 v[48:49], v[48:49], s[0:1]
	v_mul_f64 v[50:51], v[0:1], s[0:1]
	v_lshl_add_u64 v[54:55], v[54:55], 0, s[8:9]
	global_store_dwordx4 v[54:55], v[48:51], off
	scratch_load_dwordx4 v[48:51], off, off offset:216 ; 16-byte Folded Reload
	v_lshl_add_u64 v[54:55], v[54:55], 0, s[2:3]
	scratch_load_dwordx4 v[58:61], off, off offset:328 ; 16-byte Folded Reload
	s_waitcnt vmcnt(1)
	v_mul_f64 v[0:1], v[50:51], v[10:11]
	v_mul_f64 v[2:3], v[50:51], v[8:9]
	v_fmac_f64_e32 v[0:1], v[48:49], v[8:9]
	v_fma_f64 v[2:3], v[48:49], v[10:11], -v[2:3]
	ds_read_b128 v[8:11], v166 offset:7872
	v_mul_f64 v[0:1], v[0:1], s[0:1]
	v_mul_f64 v[2:3], v[2:3], s[0:1]
	global_store_dwordx4 v[54:55], v[0:3], off
	ds_read_b128 v[0:3], v166 offset:8832
	s_waitcnt vmcnt(1) lgkmcnt(1)
	v_mul_f64 v[48:49], v[60:61], v[10:11]
	v_fmac_f64_e32 v[48:49], v[58:59], v[8:9]
	v_mul_f64 v[8:9], v[60:61], v[8:9]
	v_fma_f64 v[8:9], v[58:59], v[10:11], -v[8:9]
	v_mul_f64 v[48:49], v[48:49], s[0:1]
	v_mul_f64 v[50:51], v[8:9], s[0:1]
	v_lshl_add_u64 v[54:55], v[54:55], 0, s[2:3]
	global_store_dwordx4 v[54:55], v[48:51], off
	scratch_load_dwordx4 v[48:51], off, off offset:504 ; 16-byte Folded Reload
	v_lshl_add_u64 v[54:55], v[54:55], 0, s[2:3]
	scratch_load_dwordx4 v[58:61], off, off offset:488 ; 16-byte Folded Reload
	s_waitcnt vmcnt(1)
	v_mul_f64 v[8:9], v[50:51], v[18:19]
	v_mul_f64 v[10:11], v[50:51], v[16:17]
	v_fmac_f64_e32 v[8:9], v[48:49], v[16:17]
	v_fma_f64 v[10:11], v[48:49], v[18:19], -v[10:11]
	ds_read_b128 v[16:19], v166 offset:14784
	v_mul_f64 v[8:9], v[8:9], s[0:1]
	v_mul_f64 v[10:11], v[10:11], s[0:1]
	global_store_dwordx4 v[54:55], v[8:11], off
	ds_read_b128 v[8:11], v166 offset:15744
	s_waitcnt vmcnt(1) lgkmcnt(1)
	v_mul_f64 v[48:49], v[60:61], v[18:19]
	v_fmac_f64_e32 v[48:49], v[58:59], v[16:17]
	v_mul_f64 v[16:17], v[60:61], v[16:17]
	v_fma_f64 v[16:17], v[58:59], v[18:19], -v[16:17]
	;; [unrolled: 22-line block ×4, first 2 shown]
	v_mul_f64 v[48:49], v[48:49], s[0:1]
	v_mul_f64 v[50:51], v[32:33], s[0:1]
	v_lshl_add_u64 v[54:55], v[54:55], 0, s[2:3]
	global_store_dwordx4 v[54:55], v[48:51], off
	scratch_load_dwordx4 v[48:51], off, off offset:408 ; 16-byte Folded Reload
	s_waitcnt vmcnt(0)
	v_mul_f64 v[32:33], v[50:51], v[42:43]
	v_mul_f64 v[34:35], v[50:51], v[40:41]
	v_fmac_f64_e32 v[32:33], v[48:49], v[40:41]
	v_fma_f64 v[34:35], v[48:49], v[42:43], -v[34:35]
	scratch_load_dwordx4 v[48:51], off, off offset:392 ; 16-byte Folded Reload
	v_mul_f64 v[32:33], v[32:33], s[0:1]
	v_mul_f64 v[34:35], v[34:35], s[0:1]
	v_lshl_add_u64 v[40:41], v[54:55], 0, s[2:3]
	global_store_dwordx4 v[40:41], v[32:35], off
	v_lshl_add_u64 v[40:41], v[40:41], 0, s[8:9]
	s_waitcnt vmcnt(1)
	v_mul_f64 v[32:33], v[50:51], v[46:47]
	v_fmac_f64_e32 v[32:33], v[48:49], v[44:45]
	v_mul_f64 v[34:35], v[50:51], v[44:45]
	scratch_load_dwordx4 v[42:45], off, off offset:360 ; 16-byte Folded Reload
	v_fma_f64 v[34:35], v[48:49], v[46:47], -v[34:35]
	v_mul_f64 v[32:33], v[32:33], s[0:1]
	v_mul_f64 v[34:35], v[34:35], s[0:1]
	global_store_dwordx4 v[40:41], v[32:35], off
	v_lshl_add_u64 v[40:41], v[40:41], 0, s[2:3]
	s_waitcnt vmcnt(1)
	v_mul_f64 v[32:33], v[44:45], v[14:15]
	v_fmac_f64_e32 v[32:33], v[42:43], v[12:13]
	v_mul_f64 v[12:13], v[44:45], v[12:13]
	v_fma_f64 v[12:13], v[42:43], v[14:15], -v[12:13]
	v_mul_f64 v[32:33], v[32:33], s[0:1]
	v_mul_f64 v[34:35], v[12:13], s[0:1]
	global_store_dwordx4 v[40:41], v[32:35], off
	scratch_load_dwordx4 v[32:35], off, off offset:344 ; 16-byte Folded Reload
	s_waitcnt vmcnt(0)
	v_mul_f64 v[12:13], v[34:35], v[2:3]
	v_fmac_f64_e32 v[12:13], v[32:33], v[0:1]
	v_mul_f64 v[0:1], v[34:35], v[0:1]
	v_fma_f64 v[0:1], v[32:33], v[2:3], -v[0:1]
	v_mul_f64 v[12:13], v[12:13], s[0:1]
	v_mul_f64 v[14:15], v[0:1], s[0:1]
	v_lshl_add_u64 v[32:33], v[40:41], 0, s[2:3]
	global_store_dwordx4 v[32:33], v[12:15], off
	scratch_load_dwordx4 v[12:15], off, off offset:312 ; 16-byte Folded Reload
	s_waitcnt vmcnt(0)
	v_mul_f64 v[0:1], v[14:15], v[22:23]
	v_mul_f64 v[2:3], v[14:15], v[20:21]
	scratch_load_dword v15, off, off offset:36 ; 4-byte Folded Reload
	v_fmac_f64_e32 v[0:1], v[12:13], v[20:21]
	v_fma_f64 v[2:3], v[12:13], v[22:23], -v[2:3]
	v_mul_f64 v[0:1], v[0:1], s[0:1]
	v_mul_f64 v[2:3], v[2:3], s[0:1]
	s_waitcnt vmcnt(0)
	v_mad_u64_u32 v[12:13], s[8:9], s4, v15, 0
	v_mov_b32_e32 v14, v13
	v_mad_u64_u32 v[14:15], s[8:9], s5, v15, v[14:15]
	v_mov_b32_e32 v13, v14
	v_lshl_add_u64 v[12:13], v[12:13], 4, v[52:53]
	global_store_dwordx4 v[12:13], v[0:3], off
	scratch_load_dwordx4 v[12:15], off, off offset:296 ; 16-byte Folded Reload
	s_waitcnt vmcnt(0)
	v_mul_f64 v[0:1], v[14:15], v[10:11]
	v_mul_f64 v[2:3], v[14:15], v[8:9]
	v_fmac_f64_e32 v[0:1], v[12:13], v[8:9]
	v_fma_f64 v[2:3], v[12:13], v[10:11], -v[2:3]
	scratch_load_dwordx4 v[10:13], off, off offset:264 ; 16-byte Folded Reload
	v_mad_u64_u32 v[8:9], s[4:5], s4, v56, v[32:33]
	v_mul_f64 v[0:1], v[0:1], s[0:1]
	v_mul_f64 v[2:3], v[2:3], s[0:1]
	v_add_u32_e32 v9, s10, v9
	global_store_dwordx4 v[8:9], v[0:3], off
	v_lshl_add_u64 v[8:9], v[8:9], 0, s[2:3]
	s_waitcnt vmcnt(1)
	v_mul_f64 v[0:1], v[12:13], v[30:31]
	v_mul_f64 v[2:3], v[12:13], v[28:29]
	v_fmac_f64_e32 v[0:1], v[10:11], v[28:29]
	v_fma_f64 v[2:3], v[10:11], v[30:31], -v[2:3]
	scratch_load_dwordx4 v[10:13], off, off offset:232 ; 16-byte Folded Reload
	v_mul_f64 v[0:1], v[0:1], s[0:1]
	v_mul_f64 v[2:3], v[2:3], s[0:1]
	global_store_dwordx4 v[8:9], v[0:3], off
	v_lshl_add_u64 v[8:9], v[8:9], 0, s[2:3]
	s_waitcnt vmcnt(1)
	v_mul_f64 v[0:1], v[12:13], v[18:19]
	v_mul_f64 v[2:3], v[12:13], v[16:17]
	v_fmac_f64_e32 v[0:1], v[10:11], v[16:17]
	v_fma_f64 v[2:3], v[10:11], v[18:19], -v[2:3]
	scratch_load_dwordx4 v[10:13], off, off offset:184 ; 16-byte Folded Reload
	v_mul_f64 v[0:1], v[0:1], s[0:1]
	v_mul_f64 v[2:3], v[2:3], s[0:1]
	;; [unrolled: 10-line block ×3, first 2 shown]
	global_store_dwordx4 v[8:9], v[0:3], off
	v_lshl_add_u64 v[8:9], v[8:9], 0, s[2:3]
	s_waitcnt vmcnt(1) lgkmcnt(0)
	v_mul_f64 v[0:1], v[12:13], v[26:27]
	v_mul_f64 v[2:3], v[12:13], v[24:25]
	v_fmac_f64_e32 v[0:1], v[10:11], v[24:25]
	v_fma_f64 v[2:3], v[10:11], v[26:27], -v[2:3]
	scratch_load_dwordx4 v[10:13], off, off offset:168 ; 16-byte Folded Reload
	v_mul_f64 v[0:1], v[0:1], s[0:1]
	v_mul_f64 v[2:3], v[2:3], s[0:1]
	global_store_dwordx4 v[8:9], v[0:3], off
	s_waitcnt vmcnt(1)
	s_nop 0
	v_mul_f64 v[0:1], v[12:13], v[6:7]
	v_mul_f64 v[2:3], v[12:13], v[4:5]
	v_fmac_f64_e32 v[0:1], v[10:11], v[4:5]
	v_fma_f64 v[2:3], v[10:11], v[6:7], -v[2:3]
	v_mul_f64 v[0:1], v[0:1], s[0:1]
	v_mul_f64 v[2:3], v[2:3], s[0:1]
	v_lshl_add_u64 v[4:5], v[8:9], 0, s[2:3]
	global_store_dwordx4 v[4:5], v[0:3], off
	s_and_b64 exec, exec, vcc
	s_cbranch_execz .LBB0_15
; %bb.14:
	global_load_dwordx4 v[0:3], v[164:165], off offset:2880
	v_lshl_add_u64 v[8:9], s[6:7], 4, v[4:5]
	ds_read_b128 v[4:7], v166 offset:2880
	ds_read_b128 v[10:13], v166 offset:33984
	s_movk_i32 s4, 0x1000
	v_add_co_u32_e32 v14, vcc, s4, v164
	s_movk_i32 s4, 0x2000
	s_nop 0
	v_addc_co_u32_e32 v15, vcc, 0, v165, vcc
	v_add_co_u32_e32 v18, vcc, s4, v164
	s_movk_i32 s4, 0x3000
	s_nop 0
	v_addc_co_u32_e32 v19, vcc, 0, v165, vcc
	s_waitcnt vmcnt(0) lgkmcnt(1)
	v_mul_f64 v[16:17], v[6:7], v[2:3]
	v_mul_f64 v[2:3], v[4:5], v[2:3]
	v_fmac_f64_e32 v[16:17], v[4:5], v[0:1]
	v_fma_f64 v[2:3], v[0:1], v[6:7], -v[2:3]
	v_mul_f64 v[0:1], v[16:17], s[0:1]
	v_mul_f64 v[2:3], v[2:3], s[0:1]
	global_store_dwordx4 v[8:9], v[0:3], off
	global_load_dwordx4 v[0:3], v[14:15], off offset:2240
	ds_read_b128 v[4:7], v166 offset:6336
	ds_read_b128 v[14:17], v166 offset:9792
	v_lshl_add_u64 v[8:9], v[8:9], 0, s[2:3]
	s_waitcnt vmcnt(0) lgkmcnt(1)
	v_mul_f64 v[20:21], v[6:7], v[2:3]
	v_mul_f64 v[2:3], v[4:5], v[2:3]
	v_fmac_f64_e32 v[20:21], v[4:5], v[0:1]
	v_fma_f64 v[2:3], v[0:1], v[6:7], -v[2:3]
	v_mul_f64 v[0:1], v[20:21], s[0:1]
	v_mul_f64 v[2:3], v[2:3], s[0:1]
	global_store_dwordx4 v[8:9], v[0:3], off
	global_load_dwordx4 v[0:3], v[18:19], off offset:1600
	v_add_co_u32_e32 v4, vcc, s4, v164
	v_lshl_add_u64 v[8:9], v[8:9], 0, s[2:3]
	s_nop 0
	v_addc_co_u32_e32 v5, vcc, 0, v165, vcc
	s_movk_i32 s4, 0x4000
	v_add_co_u32_e32 v18, vcc, s4, v164
	s_movk_i32 s4, 0x5000
	s_nop 0
	v_addc_co_u32_e32 v19, vcc, 0, v165, vcc
	s_waitcnt vmcnt(0) lgkmcnt(0)
	v_mul_f64 v[6:7], v[16:17], v[2:3]
	v_mul_f64 v[2:3], v[14:15], v[2:3]
	v_fmac_f64_e32 v[6:7], v[14:15], v[0:1]
	v_fma_f64 v[2:3], v[0:1], v[16:17], -v[2:3]
	v_mul_f64 v[0:1], v[6:7], s[0:1]
	v_mul_f64 v[2:3], v[2:3], s[0:1]
	global_store_dwordx4 v[8:9], v[0:3], off
	global_load_dwordx4 v[0:3], v[4:5], off offset:960
	ds_read_b128 v[4:7], v166 offset:13248
	ds_read_b128 v[14:17], v166 offset:16704
	v_lshl_add_u64 v[8:9], v[8:9], 0, s[2:3]
	s_waitcnt vmcnt(0) lgkmcnt(1)
	v_mul_f64 v[20:21], v[6:7], v[2:3]
	v_mul_f64 v[2:3], v[4:5], v[2:3]
	v_fmac_f64_e32 v[20:21], v[4:5], v[0:1]
	v_fma_f64 v[2:3], v[0:1], v[6:7], -v[2:3]
	v_mul_f64 v[0:1], v[20:21], s[0:1]
	v_mul_f64 v[2:3], v[2:3], s[0:1]
	global_store_dwordx4 v[8:9], v[0:3], off
	global_load_dwordx4 v[0:3], v[18:19], off offset:320
	v_lshl_add_u64 v[8:9], v[8:9], 0, s[2:3]
	s_waitcnt vmcnt(0) lgkmcnt(0)
	v_mul_f64 v[4:5], v[16:17], v[2:3]
	v_mul_f64 v[2:3], v[14:15], v[2:3]
	v_fmac_f64_e32 v[4:5], v[14:15], v[0:1]
	v_fma_f64 v[2:3], v[0:1], v[16:17], -v[2:3]
	v_mul_f64 v[0:1], v[4:5], s[0:1]
	v_mul_f64 v[2:3], v[2:3], s[0:1]
	global_store_dwordx4 v[8:9], v[0:3], off
	global_load_dwordx4 v[0:3], v[18:19], off offset:3776
	ds_read_b128 v[4:7], v166 offset:20160
	ds_read_b128 v[14:17], v166 offset:23616
	v_add_co_u32_e32 v18, vcc, s4, v164
	v_lshl_add_u64 v[8:9], v[8:9], 0, s[2:3]
	s_nop 0
	v_addc_co_u32_e32 v19, vcc, 0, v165, vcc
	s_movk_i32 s4, 0x6000
	s_waitcnt vmcnt(0) lgkmcnt(1)
	v_mul_f64 v[20:21], v[6:7], v[2:3]
	v_mul_f64 v[2:3], v[4:5], v[2:3]
	v_fmac_f64_e32 v[20:21], v[4:5], v[0:1]
	v_fma_f64 v[2:3], v[0:1], v[6:7], -v[2:3]
	v_mul_f64 v[0:1], v[20:21], s[0:1]
	v_mul_f64 v[2:3], v[2:3], s[0:1]
	global_store_dwordx4 v[8:9], v[0:3], off
	global_load_dwordx4 v[0:3], v[18:19], off offset:3136
	v_add_co_u32_e32 v4, vcc, s4, v164
	v_lshl_add_u64 v[8:9], v[8:9], 0, s[2:3]
	s_nop 0
	v_addc_co_u32_e32 v5, vcc, 0, v165, vcc
	s_movk_i32 s4, 0x7000
	v_add_co_u32_e32 v18, vcc, s4, v164
	s_mov_b32 s4, 0x8000
	s_nop 0
	v_addc_co_u32_e32 v19, vcc, 0, v165, vcc
	s_waitcnt vmcnt(0) lgkmcnt(0)
	v_mul_f64 v[6:7], v[16:17], v[2:3]
	v_mul_f64 v[2:3], v[14:15], v[2:3]
	v_fmac_f64_e32 v[6:7], v[14:15], v[0:1]
	v_fma_f64 v[2:3], v[0:1], v[16:17], -v[2:3]
	v_mul_f64 v[0:1], v[6:7], s[0:1]
	v_mul_f64 v[2:3], v[2:3], s[0:1]
	global_store_dwordx4 v[8:9], v[0:3], off
	global_load_dwordx4 v[0:3], v[4:5], off offset:2496
	ds_read_b128 v[4:7], v166 offset:27072
	ds_read_b128 v[14:17], v166 offset:30528
	v_lshl_add_u64 v[8:9], v[8:9], 0, s[2:3]
	s_waitcnt vmcnt(0) lgkmcnt(1)
	v_mul_f64 v[20:21], v[6:7], v[2:3]
	v_mul_f64 v[2:3], v[4:5], v[2:3]
	v_fmac_f64_e32 v[20:21], v[4:5], v[0:1]
	v_fma_f64 v[2:3], v[0:1], v[6:7], -v[2:3]
	v_mul_f64 v[0:1], v[20:21], s[0:1]
	v_mul_f64 v[2:3], v[2:3], s[0:1]
	global_store_dwordx4 v[8:9], v[0:3], off
	global_load_dwordx4 v[0:3], v[18:19], off offset:1856
	v_lshl_add_u64 v[6:7], v[8:9], 0, s[2:3]
	v_add_co_u32_e32 v4, vcc, s4, v164
	s_waitcnt vmcnt(0) lgkmcnt(0)
	v_mul_f64 v[8:9], v[16:17], v[2:3]
	v_mul_f64 v[2:3], v[14:15], v[2:3]
	v_fmac_f64_e32 v[8:9], v[14:15], v[0:1]
	v_fma_f64 v[2:3], v[0:1], v[16:17], -v[2:3]
	v_mul_f64 v[0:1], v[8:9], s[0:1]
	v_mul_f64 v[2:3], v[2:3], s[0:1]
	v_addc_co_u32_e32 v5, vcc, 0, v165, vcc
	global_store_dwordx4 v[6:7], v[0:3], off
	global_load_dwordx4 v[0:3], v[4:5], off offset:1216
	s_waitcnt vmcnt(0)
	v_mul_f64 v[4:5], v[12:13], v[2:3]
	v_mul_f64 v[2:3], v[10:11], v[2:3]
	v_fmac_f64_e32 v[4:5], v[10:11], v[0:1]
	v_fma_f64 v[2:3], v[0:1], v[12:13], -v[2:3]
	v_mul_f64 v[0:1], v[4:5], s[0:1]
	v_mul_f64 v[2:3], v[2:3], s[0:1]
	v_lshl_add_u64 v[4:5], v[6:7], 0, s[2:3]
	global_store_dwordx4 v[4:5], v[0:3], off
.LBB0_15:
	s_endpgm
	.section	.rodata,"a",@progbits
	.p2align	6, 0x0
	.amdhsa_kernel bluestein_single_back_len2160_dim1_dp_op_CI_CI
		.amdhsa_group_segment_fixed_size 34560
		.amdhsa_private_segment_fixed_size 784
		.amdhsa_kernarg_size 104
		.amdhsa_user_sgpr_count 2
		.amdhsa_user_sgpr_dispatch_ptr 0
		.amdhsa_user_sgpr_queue_ptr 0
		.amdhsa_user_sgpr_kernarg_segment_ptr 1
		.amdhsa_user_sgpr_dispatch_id 0
		.amdhsa_user_sgpr_kernarg_preload_length 0
		.amdhsa_user_sgpr_kernarg_preload_offset 0
		.amdhsa_user_sgpr_private_segment_size 0
		.amdhsa_uses_dynamic_stack 0
		.amdhsa_enable_private_segment 1
		.amdhsa_system_sgpr_workgroup_id_x 1
		.amdhsa_system_sgpr_workgroup_id_y 0
		.amdhsa_system_sgpr_workgroup_id_z 0
		.amdhsa_system_sgpr_workgroup_info 0
		.amdhsa_system_vgpr_workitem_id 0
		.amdhsa_next_free_vgpr 512
		.amdhsa_next_free_sgpr 24
		.amdhsa_accum_offset 256
		.amdhsa_reserve_vcc 1
		.amdhsa_float_round_mode_32 0
		.amdhsa_float_round_mode_16_64 0
		.amdhsa_float_denorm_mode_32 3
		.amdhsa_float_denorm_mode_16_64 3
		.amdhsa_dx10_clamp 1
		.amdhsa_ieee_mode 1
		.amdhsa_fp16_overflow 0
		.amdhsa_tg_split 0
		.amdhsa_exception_fp_ieee_invalid_op 0
		.amdhsa_exception_fp_denorm_src 0
		.amdhsa_exception_fp_ieee_div_zero 0
		.amdhsa_exception_fp_ieee_overflow 0
		.amdhsa_exception_fp_ieee_underflow 0
		.amdhsa_exception_fp_ieee_inexact 0
		.amdhsa_exception_int_div_zero 0
	.end_amdhsa_kernel
	.text
.Lfunc_end0:
	.size	bluestein_single_back_len2160_dim1_dp_op_CI_CI, .Lfunc_end0-bluestein_single_back_len2160_dim1_dp_op_CI_CI
                                        ; -- End function
	.section	.AMDGPU.csdata,"",@progbits
; Kernel info:
; codeLenInByte = 46204
; NumSgprs: 30
; NumVgprs: 256
; NumAgprs: 256
; TotalNumVgprs: 512
; ScratchSize: 784
; MemoryBound: 0
; FloatMode: 240
; IeeeMode: 1
; LDSByteSize: 34560 bytes/workgroup (compile time only)
; SGPRBlocks: 3
; VGPRBlocks: 63
; NumSGPRsForWavesPerEU: 30
; NumVGPRsForWavesPerEU: 512
; AccumOffset: 256
; Occupancy: 1
; WaveLimiterHint : 1
; COMPUTE_PGM_RSRC2:SCRATCH_EN: 1
; COMPUTE_PGM_RSRC2:USER_SGPR: 2
; COMPUTE_PGM_RSRC2:TRAP_HANDLER: 0
; COMPUTE_PGM_RSRC2:TGID_X_EN: 1
; COMPUTE_PGM_RSRC2:TGID_Y_EN: 0
; COMPUTE_PGM_RSRC2:TGID_Z_EN: 0
; COMPUTE_PGM_RSRC2:TIDIG_COMP_CNT: 0
; COMPUTE_PGM_RSRC3_GFX90A:ACCUM_OFFSET: 63
; COMPUTE_PGM_RSRC3_GFX90A:TG_SPLIT: 0
	.text
	.p2alignl 6, 3212836864
	.fill 256, 4, 3212836864
	.type	__hip_cuid_ba52c4d00ec8ffd3,@object ; @__hip_cuid_ba52c4d00ec8ffd3
	.section	.bss,"aw",@nobits
	.globl	__hip_cuid_ba52c4d00ec8ffd3
__hip_cuid_ba52c4d00ec8ffd3:
	.byte	0                               ; 0x0
	.size	__hip_cuid_ba52c4d00ec8ffd3, 1

	.ident	"AMD clang version 19.0.0git (https://github.com/RadeonOpenCompute/llvm-project roc-6.4.0 25133 c7fe45cf4b819c5991fe208aaa96edf142730f1d)"
	.section	".note.GNU-stack","",@progbits
	.addrsig
	.addrsig_sym __hip_cuid_ba52c4d00ec8ffd3
	.amdgpu_metadata
---
amdhsa.kernels:
  - .agpr_count:     256
    .args:
      - .actual_access:  read_only
        .address_space:  global
        .offset:         0
        .size:           8
        .value_kind:     global_buffer
      - .actual_access:  read_only
        .address_space:  global
        .offset:         8
        .size:           8
        .value_kind:     global_buffer
      - .actual_access:  read_only
        .address_space:  global
        .offset:         16
        .size:           8
        .value_kind:     global_buffer
      - .actual_access:  read_only
        .address_space:  global
        .offset:         24
        .size:           8
        .value_kind:     global_buffer
      - .actual_access:  read_only
        .address_space:  global
        .offset:         32
        .size:           8
        .value_kind:     global_buffer
      - .offset:         40
        .size:           8
        .value_kind:     by_value
      - .address_space:  global
        .offset:         48
        .size:           8
        .value_kind:     global_buffer
      - .address_space:  global
        .offset:         56
        .size:           8
        .value_kind:     global_buffer
      - .address_space:  global
        .offset:         64
        .size:           8
        .value_kind:     global_buffer
      - .address_space:  global
        .offset:         72
        .size:           8
        .value_kind:     global_buffer
      - .offset:         80
        .size:           4
        .value_kind:     by_value
      - .address_space:  global
        .offset:         88
        .size:           8
        .value_kind:     global_buffer
      - .address_space:  global
        .offset:         96
        .size:           8
        .value_kind:     global_buffer
    .group_segment_fixed_size: 34560
    .kernarg_segment_align: 8
    .kernarg_segment_size: 104
    .language:       OpenCL C
    .language_version:
      - 2
      - 0
    .max_flat_workgroup_size: 60
    .name:           bluestein_single_back_len2160_dim1_dp_op_CI_CI
    .private_segment_fixed_size: 784
    .sgpr_count:     30
    .sgpr_spill_count: 0
    .symbol:         bluestein_single_back_len2160_dim1_dp_op_CI_CI.kd
    .uniform_work_group_size: 1
    .uses_dynamic_stack: false
    .vgpr_count:     512
    .vgpr_spill_count: 195
    .wavefront_size: 64
amdhsa.target:   amdgcn-amd-amdhsa--gfx950
amdhsa.version:
  - 1
  - 2
...

	.end_amdgpu_metadata
